;; amdgpu-corpus repo=ROCm/rocFFT kind=compiled arch=gfx1100 opt=O3
	.text
	.amdgcn_target "amdgcn-amd-amdhsa--gfx1100"
	.amdhsa_code_object_version 6
	.protected	bluestein_single_fwd_len3888_dim1_dp_op_CI_CI ; -- Begin function bluestein_single_fwd_len3888_dim1_dp_op_CI_CI
	.globl	bluestein_single_fwd_len3888_dim1_dp_op_CI_CI
	.p2align	8
	.type	bluestein_single_fwd_len3888_dim1_dp_op_CI_CI,@function
bluestein_single_fwd_len3888_dim1_dp_op_CI_CI: ; @bluestein_single_fwd_len3888_dim1_dp_op_CI_CI
; %bb.0:
	s_load_b128 s[4:7], s[0:1], 0x28
	v_mul_u32_u24_e32 v1, 0x195, v0
	s_mov_b32 s2, exec_lo
	v_mov_b32_e32 v226, 0
	s_delay_alu instid0(VALU_DEP_2) | instskip(NEXT) | instid1(VALU_DEP_1)
	v_lshrrev_b32_e32 v1, 17, v1
	v_add_nc_u32_e32 v225, s15, v1
	s_waitcnt lgkmcnt(0)
	s_delay_alu instid0(VALU_DEP_1)
	v_cmpx_gt_u64_e64 s[4:5], v[225:226]
	s_cbranch_execz .LBB0_15
; %bb.1:
	s_clause 0x1
	s_load_b64 s[14:15], s[0:1], 0x0
	s_load_b64 s[12:13], s[0:1], 0x38
	v_mul_lo_u16 v1, 0x144, v1
	s_delay_alu instid0(VALU_DEP_1) | instskip(NEXT) | instid1(VALU_DEP_1)
	v_sub_nc_u16 v0, v0, v1
	v_and_b32_e32 v226, 0xffff, v0
	v_cmp_gt_u16_e32 vcc_lo, 0xf3, v0
	s_delay_alu instid0(VALU_DEP_2)
	v_lshlrev_b32_e32 v224, 4, v226
	s_and_saveexec_b32 s3, vcc_lo
	s_cbranch_execz .LBB0_3
; %bb.2:
	s_load_b64 s[4:5], s[0:1], 0x18
	s_waitcnt lgkmcnt(0)
	s_clause 0x1
	global_load_b128 v[0:3], v224, s[14:15]
	global_load_b128 v[4:7], v224, s[14:15] offset:3888
	v_add_co_u32 v8, s2, s14, v224
	s_delay_alu instid0(VALU_DEP_1) | instskip(NEXT) | instid1(VALU_DEP_2)
	v_add_co_ci_u32_e64 v9, null, s15, 0, s2
	v_add_co_u32 v10, s2, 0x1000, v8
	s_delay_alu instid0(VALU_DEP_1) | instskip(SKIP_1) | instid1(VALU_DEP_1)
	v_add_co_ci_u32_e64 v11, s2, 0, v9, s2
	v_add_co_u32 v14, s2, 0x2000, v8
	v_add_co_ci_u32_e64 v15, s2, 0, v9, s2
	v_add_co_u32 v18, s2, 0x3000, v8
	s_delay_alu instid0(VALU_DEP_1) | instskip(SKIP_4) | instid1(VALU_DEP_1)
	v_add_co_ci_u32_e64 v19, s2, 0, v9, s2
	v_add_co_u32 v22, s2, 0x4000, v8
	s_load_b128 s[8:11], s[4:5], 0x0
	v_add_co_ci_u32_e64 v23, s2, 0, v9, s2
	v_add_co_u32 v26, s2, 0x5000, v8
	v_add_co_ci_u32_e64 v27, s2, 0, v9, s2
	v_add_co_u32 v32, s2, 0x6000, v8
	s_delay_alu instid0(VALU_DEP_1) | instskip(SKIP_1) | instid1(VALU_DEP_1)
	v_add_co_ci_u32_e64 v33, s2, 0, v9, s2
	v_add_co_u32 v34, s2, 0x7000, v8
	v_add_co_ci_u32_e64 v35, s2, 0, v9, s2
	v_add_co_u32 v38, s2, 0x8000, v8
	s_delay_alu instid0(VALU_DEP_1)
	v_add_co_ci_u32_e64 v39, s2, 0, v9, s2
	v_add_co_u32 v42, s2, 0x9000, v8
	s_waitcnt lgkmcnt(0)
	v_mad_u64_u32 v[28:29], null, s10, v225, 0
	v_mad_u64_u32 v[30:31], null, s8, v226, 0
	v_add_co_ci_u32_e64 v43, s2, 0, v9, s2
	s_mul_i32 s4, s9, 0xf30
	s_mul_hi_u32 s5, s8, 0xf30
	s_delay_alu instid0(VALU_DEP_3) | instskip(SKIP_1) | instid1(VALU_DEP_3)
	v_mov_b32_e32 v12, v29
	s_add_i32 s5, s5, s4
	v_mov_b32_e32 v13, v31
	s_delay_alu instid0(VALU_DEP_1)
	v_mad_u64_u32 v[16:17], null, s11, v225, v[12:13]
	v_mad_u64_u32 v[36:37], null, s9, v226, v[13:14]
	global_load_b128 v[10:13], v[10:11], off offset:3680
	v_mov_b32_e32 v29, v16
	s_clause 0x2
	global_load_b128 v[14:17], v[14:15], off offset:3472
	global_load_b128 v[18:21], v[18:19], off offset:3264
	;; [unrolled: 1-line block ×3, first 2 shown]
	v_mov_b32_e32 v31, v36
	s_clause 0x1
	global_load_b128 v[42:45], v[42:43], off offset:2016
	global_load_b128 v[38:41], v[38:39], off offset:2224
	v_lshlrev_b64 v[36:37], 4, v[28:29]
	global_load_b128 v[26:29], v[26:27], off offset:2848
	v_lshlrev_b64 v[30:31], 4, v[30:31]
	v_add_co_u32 v36, s2, s6, v36
	s_delay_alu instid0(VALU_DEP_1) | instskip(SKIP_1) | instid1(VALU_DEP_2)
	v_add_co_ci_u32_e64 v37, s2, s7, v37, s2
	s_mul_i32 s6, s8, 0xf30
	v_add_co_u32 v46, s2, v36, v30
	s_delay_alu instid0(VALU_DEP_1) | instskip(SKIP_2) | instid1(VALU_DEP_1)
	v_add_co_ci_u32_e64 v47, s2, v37, v31, s2
	global_load_b128 v[30:33], v[32:33], off offset:2640
	v_add_co_u32 v50, s2, v46, s6
	v_add_co_ci_u32_e64 v51, s2, s5, v47, s2
	global_load_b128 v[34:37], v[34:35], off offset:2432
	v_add_co_u32 v54, s2, v50, s6
	s_delay_alu instid0(VALU_DEP_1) | instskip(SKIP_4) | instid1(VALU_DEP_1)
	v_add_co_ci_u32_e64 v55, s2, s5, v51, s2
	s_clause 0x1
	global_load_b128 v[46:49], v[46:47], off
	global_load_b128 v[50:53], v[50:51], off
	v_add_co_u32 v58, s2, v54, s6
	v_add_co_ci_u32_e64 v59, s2, s5, v55, s2
	global_load_b128 v[54:57], v[54:55], off
	v_add_co_u32 v62, s2, v58, s6
	s_delay_alu instid0(VALU_DEP_1) | instskip(SKIP_2) | instid1(VALU_DEP_1)
	v_add_co_ci_u32_e64 v63, s2, s5, v59, s2
	global_load_b128 v[58:61], v[58:59], off
	v_add_co_u32 v66, s2, v62, s6
	v_add_co_ci_u32_e64 v67, s2, s5, v63, s2
	global_load_b128 v[62:65], v[62:63], off
	v_add_co_u32 v70, s2, v66, s6
	s_delay_alu instid0(VALU_DEP_1) | instskip(SKIP_2) | instid1(VALU_DEP_1)
	v_add_co_ci_u32_e64 v71, s2, s5, v67, s2
	global_load_b128 v[66:69], v[66:67], off
	v_add_co_u32 v74, s2, v70, s6
	v_add_co_ci_u32_e64 v75, s2, s5, v71, s2
	s_delay_alu instid0(VALU_DEP_2) | instskip(NEXT) | instid1(VALU_DEP_1)
	v_add_co_u32 v78, s2, v74, s6
	v_add_co_ci_u32_e64 v79, s2, s5, v75, s2
	s_delay_alu instid0(VALU_DEP_2) | instskip(NEXT) | instid1(VALU_DEP_1)
	;; [unrolled: 3-line block ×3, first 2 shown]
	v_add_co_u32 v90, s2, v82, s6
	v_add_co_ci_u32_e64 v91, s2, s5, v83, s2
	global_load_b128 v[70:73], v[70:71], off
	global_load_b128 v[74:77], v[74:75], off
	;; [unrolled: 1-line block ×5, first 2 shown]
	v_add_co_u32 v90, s2, v90, s6
	s_delay_alu instid0(VALU_DEP_1) | instskip(SKIP_1) | instid1(VALU_DEP_1)
	v_add_co_ci_u32_e64 v91, s2, s5, v91, s2
	v_add_co_u32 v94, s2, 0xa000, v8
	v_add_co_ci_u32_e64 v95, s2, 0, v9, s2
	s_delay_alu instid0(VALU_DEP_4) | instskip(NEXT) | instid1(VALU_DEP_1)
	v_add_co_u32 v98, s2, v90, s6
	v_add_co_ci_u32_e64 v99, s2, s5, v91, s2
	v_add_co_u32 v102, s2, 0xb000, v8
	s_delay_alu instid0(VALU_DEP_1) | instskip(NEXT) | instid1(VALU_DEP_4)
	v_add_co_ci_u32_e64 v103, s2, 0, v9, s2
	v_add_co_u32 v110, s2, v98, s6
	s_delay_alu instid0(VALU_DEP_1) | instskip(SKIP_1) | instid1(VALU_DEP_1)
	v_add_co_ci_u32_e64 v111, s2, s5, v99, s2
	v_add_co_u32 v112, s2, 0xc000, v8
	v_add_co_ci_u32_e64 v113, s2, 0, v9, s2
	s_delay_alu instid0(VALU_DEP_4) | instskip(NEXT) | instid1(VALU_DEP_1)
	v_add_co_u32 v114, s2, v110, s6
	v_add_co_ci_u32_e64 v115, s2, s5, v111, s2
	v_add_co_u32 v118, s2, 0xd000, v8
	s_delay_alu instid0(VALU_DEP_1) | instskip(SKIP_1) | instid1(VALU_DEP_1)
	v_add_co_ci_u32_e64 v119, s2, 0, v9, s2
	v_add_co_u32 v8, s2, 0xe000, v8
	v_add_co_ci_u32_e64 v9, s2, 0, v9, s2
	global_load_b128 v[90:93], v[90:91], off
	global_load_b128 v[94:97], v[94:95], off offset:1808
	global_load_b128 v[98:101], v[98:99], off
	global_load_b128 v[102:105], v[102:103], off offset:1600
	global_load_b128 v[106:109], v[110:111], off
	v_add_co_u32 v126, s2, v114, s6
	s_delay_alu instid0(VALU_DEP_1)
	v_add_co_ci_u32_e64 v127, s2, s5, v115, s2
	global_load_b128 v[110:113], v[112:113], off offset:1392
	global_load_b128 v[114:117], v[114:115], off
	s_clause 0x1
	global_load_b128 v[118:121], v[118:119], off offset:1184
	global_load_b128 v[122:125], v[8:9], off offset:976
	global_load_b128 v[126:129], v[126:127], off
	s_waitcnt vmcnt(20)
	v_mul_f64 v[8:9], v[48:49], v[2:3]
	v_mul_f64 v[2:3], v[46:47], v[2:3]
	s_waitcnt vmcnt(19)
	v_mul_f64 v[130:131], v[52:53], v[6:7]
	v_mul_f64 v[132:133], v[50:51], v[6:7]
	;; [unrolled: 3-line block ×11, first 2 shown]
	v_fma_f64 v[6:7], v[46:47], v[0:1], v[8:9]
	v_fma_f64 v[8:9], v[48:49], v[0:1], -v[2:3]
	v_fma_f64 v[0:1], v[50:51], v[4:5], v[130:131]
	v_fma_f64 v[2:3], v[52:53], v[4:5], -v[132:133]
	;; [unrolled: 2-line block ×6, first 2 shown]
	s_waitcnt vmcnt(8)
	v_mul_f64 v[154:155], v[92:93], v[96:97]
	v_mul_f64 v[96:97], v[90:91], v[96:97]
	s_waitcnt vmcnt(6)
	v_mul_f64 v[156:157], v[100:101], v[104:105]
	v_mul_f64 v[104:105], v[98:99], v[104:105]
	;; [unrolled: 3-line block ×5, first 2 shown]
	v_fma_f64 v[22:23], v[70:71], v[26:27], v[142:143]
	v_fma_f64 v[24:25], v[72:73], v[26:27], -v[28:29]
	v_fma_f64 v[26:27], v[74:75], v[30:31], v[144:145]
	v_fma_f64 v[28:29], v[76:77], v[30:31], -v[32:33]
	;; [unrolled: 2-line block ×10, first 2 shown]
	ds_store_b128 v224, v[0:3] offset:3888
	ds_store_b128 v224, v[44:47] offset:7776
	;; [unrolled: 1-line block ×14, first 2 shown]
	ds_store_b128 v224, v[6:9]
	ds_store_b128 v224, v[64:67] offset:58320
.LBB0_3:
	s_or_b32 exec_lo, exec_lo, s3
	s_clause 0x1
	s_load_b64 s[4:5], s[0:1], 0x20
	s_load_b64 s[2:3], s[0:1], 0x8
	s_waitcnt lgkmcnt(0)
	s_barrier
	buffer_gl0_inv
                                        ; implicit-def: $vgpr32_vgpr33
                                        ; implicit-def: $vgpr12_vgpr13
                                        ; implicit-def: $vgpr28_vgpr29
                                        ; implicit-def: $vgpr56_vgpr57
                                        ; implicit-def: $vgpr60_vgpr61
                                        ; implicit-def: $vgpr48_vgpr49
                                        ; implicit-def: $vgpr52_vgpr53
                                        ; implicit-def: $vgpr40_vgpr41
                                        ; implicit-def: $vgpr44_vgpr45
                                        ; implicit-def: $vgpr36_vgpr37
                                        ; implicit-def: $vgpr24_vgpr25
                                        ; implicit-def: $vgpr20_vgpr21
                                        ; implicit-def: $vgpr16_vgpr17
                                        ; implicit-def: $vgpr8_vgpr9
                                        ; implicit-def: $vgpr4_vgpr5
                                        ; implicit-def: $vgpr0_vgpr1
	s_and_saveexec_b32 s0, vcc_lo
	s_cbranch_execz .LBB0_5
; %bb.4:
	ds_load_b128 v[0:3], v224 offset:3888
	ds_load_b128 v[4:7], v224 offset:7776
	;; [unrolled: 1-line block ×14, first 2 shown]
	ds_load_b128 v[32:35], v224
	ds_load_b128 v[56:59], v224 offset:58320
.LBB0_5:
	s_or_b32 exec_lo, exec_lo, s0
	s_waitcnt lgkmcnt(1)
	v_add_f64 v[64:65], v[32:33], -v[36:37]
	v_add_f64 v[66:67], v[34:35], -v[38:39]
	;; [unrolled: 1-line block ×14, first 2 shown]
	s_waitcnt lgkmcnt(0)
	v_add_f64 v[58:59], v[26:27], -v[58:59]
	v_add_f64 v[56:57], v[24:25], -v[56:57]
	s_mov_b32 s0, 0x667f3bcd
	s_mov_b32 s1, 0xbfe6a09e
	;; [unrolled: 1-line block ×12, first 2 shown]
	v_fma_f64 v[32:33], v[32:33], 2.0, -v[64:65]
	v_fma_f64 v[34:35], v[34:35], 2.0, -v[66:67]
	v_add_f64 v[30:31], v[66:67], v[52:53]
	v_add_f64 v[28:29], v[64:65], -v[54:55]
	v_fma_f64 v[16:17], v[16:17], 2.0, -v[52:53]
	v_fma_f64 v[18:19], v[18:19], 2.0, -v[54:55]
	v_add_f64 v[74:75], v[60:61], v[46:47]
	v_add_f64 v[72:73], v[44:45], -v[62:63]
	;; [unrolled: 4-line block ×3, first 2 shown]
	v_fma_f64 v[12:13], v[12:13], 2.0, -v[60:61]
	v_fma_f64 v[14:15], v[14:15], 2.0, -v[62:63]
	v_add_f64 v[78:79], v[40:41], -v[58:59]
	v_add_f64 v[76:77], v[56:57], v[42:43]
	v_fma_f64 v[62:63], v[0:1], 2.0, -v[68:69]
	v_fma_f64 v[82:83], v[2:3], 2.0, -v[70:71]
	;; [unrolled: 1-line block ×10, first 2 shown]
	v_add_f64 v[24:25], v[32:33], -v[16:17]
	v_add_f64 v[54:55], v[34:35], -v[18:19]
	v_fma_f64 v[58:59], v[46:47], 2.0, -v[74:75]
	v_fma_f64 v[44:45], v[44:45], 2.0, -v[72:73]
	;; [unrolled: 1-line block ×4, first 2 shown]
	v_add_f64 v[12:13], v[52:53], -v[12:13]
	v_add_f64 v[14:15], v[80:81], -v[14:15]
	v_fma_f64 v[64:65], v[40:41], 2.0, -v[78:79]
	v_fma_f64 v[66:67], v[42:43], 2.0, -v[76:77]
	v_fma_f64 v[40:41], v[78:79], s[6:7], v[36:37]
	v_fma_f64 v[88:89], v[76:77], s[6:7], v[38:39]
	v_add_f64 v[56:57], v[62:63], -v[20:21]
	v_add_f64 v[60:61], v[82:83], -v[22:23]
	v_fma_f64 v[20:21], v[72:73], s[6:7], v[28:29]
	v_fma_f64 v[22:23], v[74:75], s[6:7], v[30:31]
	v_add_f64 v[16:17], v[8:9], -v[48:49]
	v_add_f64 v[18:19], v[10:11], -v[26:27]
	v_fma_f64 v[46:47], v[32:33], 2.0, -v[24:25]
	v_fma_f64 v[50:51], v[34:35], 2.0, -v[54:55]
	v_fma_f64 v[70:71], v[58:59], s[0:1], v[2:3]
	v_fma_f64 v[68:69], v[44:45], s[0:1], v[0:1]
	v_fma_f64 v[90:91], v[52:53], 2.0, -v[12:13]
	v_fma_f64 v[80:81], v[80:81], 2.0, -v[14:15]
	v_fma_f64 v[84:85], v[64:65], s[0:1], v[4:5]
	v_fma_f64 v[86:87], v[66:67], s[0:1], v[6:7]
	v_add_f64 v[26:27], v[24:25], -v[14:15]
	v_add_f64 v[34:35], v[54:55], v[12:13]
	v_fma_f64 v[48:49], v[62:63], 2.0, -v[56:57]
	v_fma_f64 v[52:53], v[82:83], 2.0, -v[60:61]
	v_fma_f64 v[32:33], v[74:75], s[0:1], v[20:21]
	v_fma_f64 v[42:43], v[72:73], s[6:7], v[22:23]
	v_fma_f64 v[8:9], v[8:9], 2.0, -v[16:17]
	v_fma_f64 v[10:11], v[10:11], 2.0, -v[18:19]
	v_add_f64 v[72:73], v[56:57], -v[18:19]
	v_add_f64 v[74:75], v[16:17], v[60:61]
	v_fma_f64 v[76:77], v[76:77], s[0:1], v[40:41]
	v_fma_f64 v[78:79], v[78:79], s[6:7], v[88:89]
	;; [unrolled: 1-line block ×4, first 2 shown]
	v_add_f64 v[58:59], v[46:47], -v[90:91]
	v_add_f64 v[62:63], v[50:51], -v[80:81]
	v_fma_f64 v[66:67], v[66:67], s[0:1], v[84:85]
	v_fma_f64 v[68:69], v[64:65], s[6:7], v[86:87]
	v_add_f64 v[64:65], v[48:49], -v[8:9]
	v_add_f64 v[70:71], v[52:53], -v[10:11]
	v_fma_f64 v[8:9], v[72:73], s[6:7], v[26:27]
	v_fma_f64 v[10:11], v[74:75], s[6:7], v[34:35]
	;; [unrolled: 1-line block ×6, first 2 shown]
	v_add_f64 v[239:240], v[62:63], v[64:65]
	v_add_f64 v[237:238], v[58:59], -v[70:71]
	v_fma_f64 v[20:21], v[74:75], s[0:1], v[8:9]
	v_fma_f64 v[22:23], v[72:73], s[6:7], v[10:11]
	;; [unrolled: 1-line block ×4, first 2 shown]
	v_lshlrev_b16 v8, 4, v226
	scratch_store_b32 off, v8, off offset:92 ; 4-byte Folded Spill
	s_waitcnt_vscnt null, 0x0
	s_barrier
	buffer_gl0_inv
	v_fma_f64 v[231:232], v[68:69], s[10:11], v[14:15]
	v_fma_f64 v[233:234], v[66:67], s[16:17], v[16:17]
	s_and_saveexec_b32 s20, vcc_lo
	s_cbranch_execz .LBB0_7
; %bb.6:
	v_fma_f64 v[12:13], v[36:37], 2.0, -v[76:77]
	v_fma_f64 v[16:17], v[60:61], 2.0, -v[74:75]
	;; [unrolled: 1-line block ×19, first 2 shown]
	v_fma_f64 v[38:39], v[36:37], s[10:11], v[56:57]
	v_fma_f64 v[46:47], v[4:5], s[10:11], v[60:61]
	;; [unrolled: 1-line block ×6, first 2 shown]
	v_add_f64 v[2:3], v[24:25], -v[0:1]
	v_add_f64 v[0:1], v[70:71], -v[6:7]
	v_fma_f64 v[38:39], v[4:5], s[8:9], v[38:39]
	v_fma_f64 v[36:37], v[36:37], s[18:19], v[46:47]
	v_fma_f64 v[46:47], v[34:35], 2.0, -v[22:23]
	v_fma_f64 v[6:7], v[12:13], s[16:17], v[28:29]
	v_fma_f64 v[30:31], v[18:19], s[6:7], v[30:31]
	;; [unrolled: 1-line block ×4, first 2 shown]
	v_fma_f64 v[50:51], v[44:45], 2.0, -v[233:234]
	v_fma_f64 v[48:49], v[40:41], 2.0, -v[231:232]
	;; [unrolled: 1-line block ×12, first 2 shown]
	v_lshlrev_b16 v8, 4, v226
	s_delay_alu instid0(VALU_DEP_1) | instskip(NEXT) | instid1(VALU_DEP_1)
	v_and_b32_e32 v8, 0xffff, v8
	v_lshlrev_b32_e32 v8, 4, v8
	ds_store_b128 v8, v[237:240] offset:192
	ds_store_b128 v8, v[231:234] offset:208
	;; [unrolled: 1-line block ×10, first 2 shown]
	ds_store_b128 v8, v[24:27]
	ds_store_b128 v8, v[60:63] offset:16
	ds_store_b128 v8, v[56:59] offset:32
	;; [unrolled: 1-line block ×5, first 2 shown]
.LBB0_7:
	s_or_b32 exec_lo, exec_lo, s20
	v_and_b32_e32 v24, 15, v226
	s_load_b128 s[4:7], s[4:5], 0x0
	s_waitcnt lgkmcnt(0)
	s_barrier
	buffer_gl0_inv
	v_lshlrev_b32_e32 v0, 5, v24
	v_add_co_u32 v72, s0, 0x144, v226
	v_add_co_u32 v144, null, 0x288, v226
	s_clause 0x1
	global_load_b128 v[12:15], v0, s[2:3]
	global_load_b128 v[2:5], v0, s[2:3] offset:16
	v_and_b32_e32 v0, 15, v72
	v_add_co_u32 v160, null, 0x3cc, v226
	s_mov_b32 s8, 0xe8584caa
	s_mov_b32 s9, 0x3febb67a
	s_delay_alu instid0(VALU_DEP_2)
	v_lshlrev_b32_e32 v1, 5, v0
	s_mov_b32 s11, 0xbfebb67a
	s_mov_b32 s10, s8
	v_add_co_ci_u32_e64 v64, null, 0, 0, s0
	s_clause 0x1
	global_load_b128 v[140:143], v1, s[2:3]
	global_load_b128 v[136:139], v1, s[2:3] offset:16
	v_and_b32_e32 v1, 0xffff, v226
	s_delay_alu instid0(VALU_DEP_1)
	v_lshlrev_b32_e32 v228, 4, v1
	ds_load_b128 v[25:28], v228 offset:20736
	ds_load_b128 v[29:32], v228 offset:15552
	ds_load_b128 v[33:36], v228 offset:41472
	ds_load_b128 v[37:40], v228 offset:36288
	s_waitcnt vmcnt(3) lgkmcnt(3)
	v_mul_f64 v[8:9], v[27:28], v[14:15]
	v_mul_f64 v[10:11], v[25:26], v[14:15]
	scratch_store_b128 off, v[12:15], off offset:16 ; 16-byte Folded Spill
	s_waitcnt vmcnt(2)
	scratch_store_b128 off, v[2:5], off     ; 16-byte Folded Spill
	s_waitcnt lgkmcnt(1)
	v_mul_f64 v[14:15], v[33:34], v[4:5]
	v_fma_f64 v[8:9], v[25:26], v[12:13], -v[8:9]
	v_fma_f64 v[10:11], v[27:28], v[12:13], v[10:11]
	v_mul_f64 v[12:13], v[35:36], v[4:5]
	s_delay_alu instid0(VALU_DEP_4) | instskip(NEXT) | instid1(VALU_DEP_2)
	v_fma_f64 v[14:15], v[35:36], v[2:3], v[14:15]
	v_fma_f64 v[12:13], v[33:34], v[2:3], -v[12:13]
	ds_load_b128 v[25:28], v228 offset:25920
	ds_load_b128 v[33:36], v228 offset:31104
	v_and_b32_e32 v2, 15, v144
	s_delay_alu instid0(VALU_DEP_1) | instskip(SKIP_3) | instid1(VALU_DEP_2)
	v_lshlrev_b32_e32 v3, 5, v2
	s_waitcnt vmcnt(1) lgkmcnt(1)
	v_mul_f64 v[16:17], v[27:28], v[142:143]
	v_mul_f64 v[18:19], v[25:26], v[142:143]
	v_fma_f64 v[16:17], v[25:26], v[140:141], -v[16:17]
	s_delay_alu instid0(VALU_DEP_2)
	v_fma_f64 v[18:19], v[27:28], v[140:141], v[18:19]
	ds_load_b128 v[25:28], v228 offset:46656
	ds_load_b128 v[41:44], v228 offset:51840
	s_clause 0x1
	global_load_b128 v[156:159], v3, s[2:3]
	global_load_b128 v[152:155], v3, s[2:3] offset:16
	v_and_b32_e32 v3, 15, v160
	s_delay_alu instid0(VALU_DEP_1) | instskip(SKIP_4) | instid1(VALU_DEP_1)
	v_lshlrev_b32_e32 v4, 5, v3
	s_clause 0x1
	global_load_b128 v[172:175], v4, s[2:3]
	global_load_b128 v[168:171], v4, s[2:3] offset:16
	v_lshrrev_b32_e32 v4, 4, v226
	v_mul_u32_u24_e32 v4, 48, v4
	s_waitcnt vmcnt(4) lgkmcnt(1)
	v_mul_f64 v[45:46], v[27:28], v[138:139]
	s_delay_alu instid0(VALU_DEP_2) | instskip(NEXT) | instid1(VALU_DEP_1)
	v_or_b32_e32 v4, v4, v24
	v_lshlrev_b32_e32 v4, 4, v4
	s_delay_alu instid0(VALU_DEP_3) | instskip(SKIP_1) | instid1(VALU_DEP_1)
	v_fma_f64 v[49:50], v[25:26], v[136:137], -v[45:46]
	v_mul_f64 v[25:26], v[25:26], v[138:139]
	v_fma_f64 v[51:52], v[27:28], v[136:137], v[25:26]
	s_waitcnt vmcnt(3)
	v_mul_f64 v[25:26], v[35:36], v[158:159]
	s_delay_alu instid0(VALU_DEP_1) | instskip(SKIP_1) | instid1(VALU_DEP_1)
	v_fma_f64 v[57:58], v[33:34], v[156:157], -v[25:26]
	v_mul_f64 v[25:26], v[33:34], v[158:159]
	v_fma_f64 v[59:60], v[35:36], v[156:157], v[25:26]
	s_waitcnt vmcnt(2) lgkmcnt(0)
	v_mul_f64 v[25:26], v[43:44], v[154:155]
	s_delay_alu instid0(VALU_DEP_1) | instskip(SKIP_1) | instid1(VALU_DEP_1)
	v_fma_f64 v[61:62], v[41:42], v[152:153], -v[25:26]
	v_mul_f64 v[25:26], v[41:42], v[154:155]
	v_fma_f64 v[65:66], v[43:44], v[152:153], v[25:26]
	s_waitcnt vmcnt(1)
	v_mul_f64 v[25:26], v[39:40], v[174:175]
	s_delay_alu instid0(VALU_DEP_1) | instskip(SKIP_1) | instid1(VALU_DEP_1)
	v_fma_f64 v[69:70], v[37:38], v[172:173], -v[25:26]
	v_mul_f64 v[25:26], v[37:38], v[174:175]
	v_fma_f64 v[73:74], v[39:40], v[172:173], v[25:26]
	ds_load_b128 v[25:28], v228 offset:57024
	ds_load_b128 v[33:36], v228
	ds_load_b128 v[41:44], v228 offset:5184
	ds_load_b128 v[45:48], v228 offset:10368
	s_waitcnt vmcnt(0) lgkmcnt(0)
	s_waitcnt_vscnt null, 0x0
	s_barrier
	buffer_gl0_inv
	v_mul_f64 v[37:38], v[27:28], v[170:171]
	s_delay_alu instid0(VALU_DEP_1) | instskip(SKIP_1) | instid1(VALU_DEP_1)
	v_fma_f64 v[75:76], v[25:26], v[168:169], -v[37:38]
	v_mul_f64 v[25:26], v[25:26], v[170:171]
	v_fma_f64 v[77:78], v[27:28], v[168:169], v[25:26]
	v_add_f64 v[25:26], v[8:9], v[12:13]
	s_delay_alu instid0(VALU_DEP_1) | instskip(SKIP_3) | instid1(VALU_DEP_3)
	v_fma_f64 v[37:38], v[25:26], -0.5, v[33:34]
	v_add_f64 v[25:26], v[10:11], v[14:15]
	v_add_f64 v[33:34], v[33:34], v[8:9]
	v_add_f64 v[8:9], v[8:9], -v[12:13]
	v_fma_f64 v[39:40], v[25:26], -0.5, v[35:36]
	v_add_f64 v[25:26], v[35:36], v[10:11]
	v_add_f64 v[10:11], v[10:11], -v[14:15]
	s_delay_alu instid0(VALU_DEP_3) | instskip(NEXT) | instid1(VALU_DEP_3)
	v_fma_f64 v[35:36], v[8:9], s[10:11], v[39:40]
	v_add_f64 v[27:28], v[25:26], v[14:15]
	v_add_f64 v[25:26], v[33:34], v[12:13]
	s_delay_alu instid0(VALU_DEP_4)
	v_fma_f64 v[33:34], v[10:11], s[8:9], v[37:38]
	v_fma_f64 v[37:38], v[10:11], s[10:11], v[37:38]
	;; [unrolled: 1-line block ×3, first 2 shown]
	v_add_f64 v[8:9], v[16:17], v[49:50]
	v_add_f64 v[10:11], v[18:19], v[51:52]
	;; [unrolled: 1-line block ×4, first 2 shown]
	v_add_f64 v[18:19], v[18:19], -v[51:52]
	ds_store_b128 v4, v[25:28]
	ds_store_b128 v4, v[33:36] offset:256
	scratch_store_b32 off, v4, off offset:88 ; 4-byte Folded Spill
	ds_store_b128 v4, v[37:40] offset:512
	v_fma_f64 v[8:9], v[8:9], -0.5, v[41:42]
	v_fma_f64 v[10:11], v[10:11], -0.5, v[43:44]
	v_add_f64 v[43:44], v[12:13], v[51:52]
	v_add_f64 v[12:13], v[16:17], -v[49:50]
	v_add_f64 v[41:42], v[14:15], v[49:50]
	v_add_f64 v[16:17], v[59:60], -v[65:66]
	v_add_f64 v[14:15], v[45:46], v[57:58]
	v_lshrrev_b32_e32 v4, 4, v72
	s_delay_alu instid0(VALU_DEP_1) | instskip(NEXT) | instid1(VALU_DEP_1)
	v_mul_u32_u24_e32 v4, 48, v4
	v_or_b32_e32 v0, v4, v0
	s_delay_alu instid0(VALU_DEP_1)
	v_lshlrev_b32_e32 v0, 4, v0
	v_fma_f64 v[49:50], v[18:19], s[8:9], v[8:9]
	v_fma_f64 v[53:54], v[18:19], s[10:11], v[8:9]
	v_add_f64 v[8:9], v[57:58], v[61:62]
	v_fma_f64 v[51:52], v[12:13], s[10:11], v[10:11]
	v_fma_f64 v[55:56], v[12:13], s[8:9], v[10:11]
	v_add_f64 v[10:11], v[59:60], v[65:66]
	v_add_f64 v[12:13], v[47:48], v[59:60]
	ds_store_b128 v0, v[41:44]
	ds_store_b128 v0, v[49:52] offset:256
	v_fma_f64 v[8:9], v[8:9], -0.5, v[45:46]
	v_add_f64 v[45:46], v[14:15], v[61:62]
	v_fma_f64 v[10:11], v[10:11], -0.5, v[47:48]
	v_add_f64 v[47:48], v[12:13], v[65:66]
	v_add_f64 v[12:13], v[57:58], -v[61:62]
	v_add_f64 v[14:15], v[29:30], v[69:70]
	scratch_store_b32 off, v0, off offset:84 ; 4-byte Folded Spill
	ds_store_b128 v0, v[53:56] offset:512
	v_lshrrev_b32_e32 v0, 4, v144
	s_delay_alu instid0(VALU_DEP_1) | instskip(NEXT) | instid1(VALU_DEP_1)
	v_mul_u32_u24_e32 v0, 48, v0
	v_or_b32_e32 v0, v0, v2
	s_delay_alu instid0(VALU_DEP_1)
	v_lshlrev_b32_e32 v0, 4, v0
	v_fma_f64 v[57:58], v[16:17], s[8:9], v[8:9]
	v_fma_f64 v[65:66], v[16:17], s[10:11], v[8:9]
	v_add_f64 v[8:9], v[69:70], v[75:76]
	v_add_f64 v[16:17], v[73:74], -v[77:78]
	v_fma_f64 v[59:60], v[12:13], s[10:11], v[10:11]
	v_fma_f64 v[67:68], v[12:13], s[8:9], v[10:11]
	v_add_f64 v[10:11], v[73:74], v[77:78]
	v_add_f64 v[12:13], v[31:32], v[73:74]
	ds_store_b128 v0, v[45:48]
	ds_store_b128 v0, v[57:60] offset:256
	v_fma_f64 v[8:9], v[8:9], -0.5, v[29:30]
	v_add_f64 v[29:30], v[14:15], v[75:76]
	v_fma_f64 v[10:11], v[10:11], -0.5, v[31:32]
	v_add_f64 v[31:32], v[12:13], v[77:78]
	v_add_f64 v[12:13], v[69:70], -v[75:76]
	scratch_store_b32 off, v0, off offset:80 ; 4-byte Folded Spill
	ds_store_b128 v0, v[65:68] offset:512
	v_lshrrev_b32_e32 v0, 4, v160
	s_delay_alu instid0(VALU_DEP_1) | instskip(NEXT) | instid1(VALU_DEP_1)
	v_mul_u32_u24_e32 v0, 48, v0
	v_or_b32_e32 v0, v0, v3
	s_delay_alu instid0(VALU_DEP_1)
	v_lshlrev_b32_e32 v0, 4, v0
	v_fma_f64 v[77:78], v[16:17], s[10:11], v[8:9]
	v_fma_f64 v[73:74], v[16:17], s[8:9], v[8:9]
	;; [unrolled: 1-line block ×4, first 2 shown]
	ds_store_b128 v0, v[29:32]
	ds_store_b128 v0, v[73:76] offset:256
	scratch_store_b32 off, v0, off offset:76 ; 4-byte Folded Spill
	ds_store_b128 v0, v[77:80] offset:512
	v_mul_u32_u24_e32 v0, 0xaaab, v1
	s_waitcnt lgkmcnt(0)
	s_waitcnt_vscnt null, 0x0
	s_barrier
	buffer_gl0_inv
	v_and_b32_e32 v77, 0xffff, v160
	v_lshrrev_b32_e32 v0, 21, v0
	s_delay_alu instid0(VALU_DEP_1) | instskip(NEXT) | instid1(VALU_DEP_1)
	v_mul_lo_u16 v2, v0, 48
	v_sub_nc_u16 v2, v226, v2
	s_delay_alu instid0(VALU_DEP_1) | instskip(SKIP_1) | instid1(VALU_DEP_2)
	v_lshlrev_b16 v3, 5, v2
	v_mad_u16 v0, 0x90, v0, v2
	v_and_b32_e32 v3, 0xffff, v3
	s_delay_alu instid0(VALU_DEP_2) | instskip(NEXT) | instid1(VALU_DEP_2)
	v_and_b32_e32 v0, 0xffff, v0
	v_add_co_u32 v8, s0, s2, v3
	s_delay_alu instid0(VALU_DEP_1)
	v_add_co_ci_u32_e64 v9, null, s3, 0, s0
	s_clause 0x1
	global_load_b128 v[100:103], v[8:9], off offset:512
	global_load_b128 v[96:99], v[8:9], off offset:528
	ds_load_b128 v[24:27], v228 offset:20736
	ds_load_b128 v[28:31], v228 offset:15552
	v_and_b32_e32 v3, 0xffff, v72
	v_lshlrev_b32_e32 v0, 4, v0
	s_delay_alu instid0(VALU_DEP_2) | instskip(NEXT) | instid1(VALU_DEP_1)
	v_mul_u32_u24_e32 v4, 0xaaab, v3
	v_lshrrev_b32_e32 v4, 21, v4
	s_delay_alu instid0(VALU_DEP_1) | instskip(NEXT) | instid1(VALU_DEP_1)
	v_mul_lo_u16 v5, v4, 48
	v_sub_nc_u16 v5, v72, v5
	s_delay_alu instid0(VALU_DEP_1) | instskip(NEXT) | instid1(VALU_DEP_1)
	v_lshlrev_b16 v6, 5, v5
	v_and_b32_e32 v6, 0xffff, v6
	s_delay_alu instid0(VALU_DEP_1) | instskip(NEXT) | instid1(VALU_DEP_1)
	v_add_co_u32 v16, s0, s2, v6
	v_add_co_ci_u32_e64 v17, null, s3, 0, s0
	v_and_b32_e32 v6, 0xffff, v144
	s_delay_alu instid0(VALU_DEP_1) | instskip(NEXT) | instid1(VALU_DEP_1)
	v_mul_u32_u24_e32 v7, 0xaaab, v6
	v_lshrrev_b32_e32 v7, 21, v7
	s_waitcnt vmcnt(1) lgkmcnt(1)
	v_mul_f64 v[8:9], v[26:27], v[102:103]
	v_mul_f64 v[10:11], v[24:25], v[102:103]
	s_delay_alu instid0(VALU_DEP_2) | instskip(NEXT) | instid1(VALU_DEP_2)
	v_fma_f64 v[8:9], v[24:25], v[100:101], -v[8:9]
	v_fma_f64 v[10:11], v[26:27], v[100:101], v[10:11]
	ds_load_b128 v[24:27], v228 offset:41472
	ds_load_b128 v[32:35], v228 offset:36288
	s_clause 0x1
	global_load_b128 v[108:111], v[16:17], off offset:512
	global_load_b128 v[104:107], v[16:17], off offset:528
	s_waitcnt vmcnt(2) lgkmcnt(1)
	v_mul_f64 v[12:13], v[26:27], v[98:99]
	v_mul_f64 v[14:15], v[24:25], v[98:99]
	s_delay_alu instid0(VALU_DEP_2) | instskip(NEXT) | instid1(VALU_DEP_2)
	v_fma_f64 v[12:13], v[24:25], v[96:97], -v[12:13]
	v_fma_f64 v[14:15], v[26:27], v[96:97], v[14:15]
	ds_load_b128 v[24:27], v228 offset:25920
	ds_load_b128 v[36:39], v228 offset:31104
	s_waitcnt vmcnt(1) lgkmcnt(1)
	v_mul_f64 v[16:17], v[26:27], v[110:111]
	v_mul_f64 v[18:19], v[24:25], v[110:111]
	s_delay_alu instid0(VALU_DEP_2) | instskip(NEXT) | instid1(VALU_DEP_2)
	v_fma_f64 v[16:17], v[24:25], v[108:109], -v[16:17]
	v_fma_f64 v[18:19], v[26:27], v[108:109], v[18:19]
	ds_load_b128 v[24:27], v228 offset:46656
	ds_load_b128 v[40:43], v228 offset:51840
	s_waitcnt vmcnt(0) lgkmcnt(1)
	v_mul_f64 v[44:45], v[26:27], v[106:107]
	s_delay_alu instid0(VALU_DEP_1) | instskip(SKIP_1) | instid1(VALU_DEP_1)
	v_fma_f64 v[48:49], v[24:25], v[104:105], -v[44:45]
	v_mul_f64 v[24:25], v[24:25], v[106:107]
	v_fma_f64 v[50:51], v[26:27], v[104:105], v[24:25]
	v_mul_lo_u16 v24, v7, 48
	s_delay_alu instid0(VALU_DEP_1) | instskip(NEXT) | instid1(VALU_DEP_1)
	v_sub_nc_u16 v71, v144, v24
	v_lshlrev_b16 v24, 5, v71
	s_delay_alu instid0(VALU_DEP_1) | instskip(NEXT) | instid1(VALU_DEP_1)
	v_and_b32_e32 v24, 0xffff, v24
	v_add_co_u32 v24, s0, s2, v24
	s_delay_alu instid0(VALU_DEP_1)
	v_add_co_ci_u32_e64 v25, null, s3, 0, s0
	s_clause 0x1
	global_load_b128 v[116:119], v[24:25], off offset:512
	global_load_b128 v[112:115], v[24:25], off offset:528
	s_waitcnt vmcnt(1)
	v_mul_f64 v[24:25], v[38:39], v[118:119]
	s_delay_alu instid0(VALU_DEP_1) | instskip(SKIP_1) | instid1(VALU_DEP_1)
	v_fma_f64 v[56:57], v[36:37], v[116:117], -v[24:25]
	v_mul_f64 v[24:25], v[36:37], v[118:119]
	v_fma_f64 v[58:59], v[38:39], v[116:117], v[24:25]
	s_waitcnt vmcnt(0) lgkmcnt(0)
	v_mul_f64 v[24:25], v[42:43], v[114:115]
	s_delay_alu instid0(VALU_DEP_1) | instskip(SKIP_1) | instid1(VALU_DEP_1)
	v_fma_f64 v[60:61], v[40:41], v[112:113], -v[24:25]
	v_mul_f64 v[24:25], v[40:41], v[114:115]
	v_fma_f64 v[62:63], v[42:43], v[112:113], v[24:25]
	v_mul_u32_u24_e32 v24, 0xaaab, v77
	s_delay_alu instid0(VALU_DEP_1) | instskip(NEXT) | instid1(VALU_DEP_1)
	v_lshrrev_b32_e32 v78, 21, v24
	v_mul_lo_u16 v24, v78, 48
	s_delay_alu instid0(VALU_DEP_1) | instskip(NEXT) | instid1(VALU_DEP_1)
	v_sub_nc_u16 v79, v160, v24
	v_lshlrev_b16 v24, 5, v79
	s_delay_alu instid0(VALU_DEP_1) | instskip(NEXT) | instid1(VALU_DEP_1)
	v_and_b32_e32 v24, 0xffff, v24
	v_add_co_u32 v24, s0, s2, v24
	s_delay_alu instid0(VALU_DEP_1)
	v_add_co_ci_u32_e64 v25, null, s3, 0, s0
	s_clause 0x1
	global_load_b128 v[124:127], v[24:25], off offset:512
	global_load_b128 v[120:123], v[24:25], off offset:528
	s_waitcnt vmcnt(1)
	v_mul_f64 v[24:25], v[34:35], v[126:127]
	s_delay_alu instid0(VALU_DEP_1) | instskip(SKIP_1) | instid1(VALU_DEP_1)
	v_fma_f64 v[65:66], v[32:33], v[124:125], -v[24:25]
	v_mul_f64 v[24:25], v[32:33], v[126:127]
	v_fma_f64 v[67:68], v[34:35], v[124:125], v[24:25]
	ds_load_b128 v[24:27], v228 offset:57024
	ds_load_b128 v[32:35], v228
	ds_load_b128 v[40:43], v228 offset:5184
	ds_load_b128 v[44:47], v228 offset:10368
	s_waitcnt vmcnt(0) lgkmcnt(0)
	s_barrier
	buffer_gl0_inv
	v_mul_f64 v[36:37], v[26:27], v[122:123]
	s_delay_alu instid0(VALU_DEP_1) | instskip(SKIP_1) | instid1(VALU_DEP_1)
	v_fma_f64 v[69:70], v[24:25], v[120:121], -v[36:37]
	v_mul_f64 v[24:25], v[24:25], v[122:123]
	v_fma_f64 v[73:74], v[26:27], v[120:121], v[24:25]
	v_add_f64 v[24:25], v[8:9], v[12:13]
	s_delay_alu instid0(VALU_DEP_1) | instskip(SKIP_3) | instid1(VALU_DEP_3)
	v_fma_f64 v[36:37], v[24:25], -0.5, v[32:33]
	v_add_f64 v[24:25], v[10:11], v[14:15]
	v_add_f64 v[32:33], v[32:33], v[8:9]
	v_add_f64 v[8:9], v[8:9], -v[12:13]
	v_fma_f64 v[38:39], v[24:25], -0.5, v[34:35]
	v_add_f64 v[24:25], v[34:35], v[10:11]
	v_add_f64 v[10:11], v[10:11], -v[14:15]
	s_delay_alu instid0(VALU_DEP_3) | instskip(NEXT) | instid1(VALU_DEP_3)
	v_fma_f64 v[34:35], v[8:9], s[10:11], v[38:39]
	v_add_f64 v[26:27], v[24:25], v[14:15]
	v_add_f64 v[24:25], v[32:33], v[12:13]
	s_delay_alu instid0(VALU_DEP_4)
	v_fma_f64 v[32:33], v[10:11], s[8:9], v[36:37]
	v_fma_f64 v[36:37], v[10:11], s[10:11], v[36:37]
	;; [unrolled: 1-line block ×3, first 2 shown]
	v_add_f64 v[8:9], v[16:17], v[48:49]
	v_add_f64 v[10:11], v[18:19], v[50:51]
	;; [unrolled: 1-line block ×4, first 2 shown]
	v_add_f64 v[18:19], v[18:19], -v[50:51]
	ds_store_b128 v0, v[24:27]
	ds_store_b128 v0, v[32:35] offset:768
	scratch_store_b32 off, v0, off offset:60 ; 4-byte Folded Spill
	ds_store_b128 v0, v[36:39] offset:1536
	v_fma_f64 v[8:9], v[8:9], -0.5, v[40:41]
	v_fma_f64 v[10:11], v[10:11], -0.5, v[42:43]
	v_add_f64 v[42:43], v[12:13], v[50:51]
	v_add_f64 v[12:13], v[16:17], -v[48:49]
	v_add_f64 v[40:41], v[14:15], v[48:49]
	v_add_f64 v[14:15], v[44:45], v[56:57]
	v_add_f64 v[16:17], v[58:59], -v[62:63]
	v_mad_u16 v0, 0x90, v4, v5
	s_delay_alu instid0(VALU_DEP_1) | instskip(NEXT) | instid1(VALU_DEP_1)
	v_and_b32_e32 v0, 0xffff, v0
	v_lshlrev_b32_e32 v0, 4, v0
	v_fma_f64 v[48:49], v[18:19], s[8:9], v[8:9]
	v_fma_f64 v[52:53], v[18:19], s[10:11], v[8:9]
	v_add_f64 v[8:9], v[56:57], v[60:61]
	v_fma_f64 v[50:51], v[12:13], s[10:11], v[10:11]
	v_fma_f64 v[54:55], v[12:13], s[8:9], v[10:11]
	v_add_f64 v[10:11], v[58:59], v[62:63]
	v_add_f64 v[12:13], v[46:47], v[58:59]
	ds_store_b128 v0, v[40:43]
	ds_store_b128 v0, v[48:51] offset:768
	v_fma_f64 v[8:9], v[8:9], -0.5, v[44:45]
	v_add_f64 v[44:45], v[14:15], v[60:61]
	v_fma_f64 v[10:11], v[10:11], -0.5, v[46:47]
	v_add_f64 v[46:47], v[12:13], v[62:63]
	v_add_f64 v[12:13], v[56:57], -v[60:61]
	v_add_f64 v[14:15], v[28:29], v[65:66]
	scratch_store_b32 off, v0, off offset:56 ; 4-byte Folded Spill
	ds_store_b128 v0, v[52:55] offset:1536
	v_mad_u16 v0, 0x90, v7, v71
	s_delay_alu instid0(VALU_DEP_1) | instskip(NEXT) | instid1(VALU_DEP_1)
	v_and_b32_e32 v0, 0xffff, v0
	v_lshlrev_b32_e32 v0, 4, v0
	v_fma_f64 v[56:57], v[16:17], s[8:9], v[8:9]
	v_fma_f64 v[60:61], v[16:17], s[10:11], v[8:9]
	v_add_f64 v[8:9], v[65:66], v[69:70]
	v_add_f64 v[16:17], v[67:68], -v[73:74]
	v_fma_f64 v[58:59], v[12:13], s[10:11], v[10:11]
	v_fma_f64 v[62:63], v[12:13], s[8:9], v[10:11]
	v_add_f64 v[10:11], v[67:68], v[73:74]
	v_add_f64 v[12:13], v[30:31], v[67:68]
	ds_store_b128 v0, v[44:47]
	ds_store_b128 v0, v[56:59] offset:768
	v_fma_f64 v[8:9], v[8:9], -0.5, v[28:29]
	v_add_f64 v[28:29], v[14:15], v[69:70]
	v_fma_f64 v[10:11], v[10:11], -0.5, v[30:31]
	v_add_f64 v[30:31], v[12:13], v[73:74]
	v_add_f64 v[12:13], v[65:66], -v[69:70]
	scratch_store_b32 off, v0, off offset:52 ; 4-byte Folded Spill
	ds_store_b128 v0, v[60:63] offset:1536
	v_mad_u16 v0, 0x90, v78, v79
	s_delay_alu instid0(VALU_DEP_1) | instskip(NEXT) | instid1(VALU_DEP_1)
	v_and_b32_e32 v0, 0xffff, v0
	v_lshlrev_b32_e32 v0, 4, v0
	v_fma_f64 v[73:74], v[16:17], s[10:11], v[8:9]
	v_fma_f64 v[65:66], v[16:17], s[8:9], v[8:9]
	;; [unrolled: 1-line block ×4, first 2 shown]
	ds_store_b128 v0, v[28:31]
	ds_store_b128 v0, v[65:68] offset:768
	scratch_store_b32 off, v0, off offset:48 ; 4-byte Folded Spill
	ds_store_b128 v0, v[73:76] offset:1536
	v_mul_u32_u24_e32 v0, 0xe38f, v1
	s_waitcnt lgkmcnt(0)
	s_waitcnt_vscnt null, 0x0
	s_barrier
	buffer_gl0_inv
	v_lshrrev_b32_e32 v0, 23, v0
	s_delay_alu instid0(VALU_DEP_1) | instskip(NEXT) | instid1(VALU_DEP_1)
	v_mul_lo_u16 v1, 0x90, v0
	v_sub_nc_u16 v1, v226, v1
	s_delay_alu instid0(VALU_DEP_1) | instskip(SKIP_1) | instid1(VALU_DEP_2)
	v_lshlrev_b16 v2, 5, v1
	v_mad_u16 v0, 0x1b0, v0, v1
	v_and_b32_e32 v2, 0xffff, v2
	s_delay_alu instid0(VALU_DEP_2) | instskip(NEXT) | instid1(VALU_DEP_2)
	v_and_b32_e32 v0, 0xffff, v0
	v_add_co_u32 v8, s0, s2, v2
	s_delay_alu instid0(VALU_DEP_1)
	v_add_co_ci_u32_e64 v9, null, s3, 0, s0
	s_clause 0x1
	global_load_b128 v[36:39], v[8:9], off offset:2048
	global_load_b128 v[32:35], v[8:9], off offset:2064
	ds_load_b128 v[24:27], v228 offset:20736
	ds_load_b128 v[28:31], v228 offset:15552
	v_mul_u32_u24_e32 v2, 0xe38f, v3
	v_lshlrev_b32_e32 v0, 4, v0
	s_delay_alu instid0(VALU_DEP_2) | instskip(NEXT) | instid1(VALU_DEP_1)
	v_lshrrev_b32_e32 v2, 23, v2
	v_mul_lo_u16 v3, 0x90, v2
	s_delay_alu instid0(VALU_DEP_1) | instskip(NEXT) | instid1(VALU_DEP_1)
	v_sub_nc_u16 v3, v72, v3
	v_lshlrev_b16 v4, 5, v3
	s_delay_alu instid0(VALU_DEP_1) | instskip(NEXT) | instid1(VALU_DEP_1)
	v_and_b32_e32 v4, 0xffff, v4
	v_add_co_u32 v16, s0, s2, v4
	s_delay_alu instid0(VALU_DEP_1) | instskip(SKIP_1) | instid1(VALU_DEP_1)
	v_add_co_ci_u32_e64 v17, null, s3, 0, s0
	v_mul_u32_u24_e32 v4, 0xe38f, v6
	v_lshrrev_b32_e32 v4, 23, v4
	s_delay_alu instid0(VALU_DEP_1) | instskip(NEXT) | instid1(VALU_DEP_1)
	v_mul_lo_u16 v5, 0x90, v4
	v_sub_nc_u16 v5, v144, v5
	s_delay_alu instid0(VALU_DEP_1) | instskip(NEXT) | instid1(VALU_DEP_1)
	v_lshlrev_b16 v6, 5, v5
	v_and_b32_e32 v6, 0xffff, v6
	s_waitcnt vmcnt(1) lgkmcnt(1)
	v_mul_f64 v[8:9], v[26:27], v[38:39]
	v_mul_f64 v[10:11], v[24:25], v[38:39]
	s_delay_alu instid0(VALU_DEP_2) | instskip(NEXT) | instid1(VALU_DEP_2)
	v_fma_f64 v[8:9], v[24:25], v[36:37], -v[8:9]
	v_fma_f64 v[10:11], v[26:27], v[36:37], v[10:11]
	ds_load_b128 v[24:27], v228 offset:41472
	ds_load_b128 v[65:68], v228 offset:36288
	s_clause 0x1
	global_load_b128 v[44:47], v[16:17], off offset:2048
	global_load_b128 v[40:43], v[16:17], off offset:2064
	s_waitcnt vmcnt(2) lgkmcnt(1)
	v_mul_f64 v[12:13], v[26:27], v[34:35]
	v_mul_f64 v[14:15], v[24:25], v[34:35]
	s_delay_alu instid0(VALU_DEP_2) | instskip(NEXT) | instid1(VALU_DEP_2)
	v_fma_f64 v[12:13], v[24:25], v[32:33], -v[12:13]
	v_fma_f64 v[14:15], v[26:27], v[32:33], v[14:15]
	ds_load_b128 v[24:27], v228 offset:25920
	ds_load_b128 v[56:59], v228 offset:31104
	s_waitcnt vmcnt(1) lgkmcnt(1)
	v_mul_f64 v[16:17], v[26:27], v[46:47]
	v_mul_f64 v[18:19], v[24:25], v[46:47]
	s_delay_alu instid0(VALU_DEP_2) | instskip(NEXT) | instid1(VALU_DEP_2)
	v_fma_f64 v[16:17], v[24:25], v[44:45], -v[16:17]
	v_fma_f64 v[18:19], v[26:27], v[44:45], v[18:19]
	ds_load_b128 v[24:27], v228 offset:46656
	ds_load_b128 v[60:63], v228 offset:51840
	s_waitcnt vmcnt(0) lgkmcnt(1)
	v_mul_f64 v[48:49], v[26:27], v[42:43]
	s_delay_alu instid0(VALU_DEP_1) | instskip(SKIP_1) | instid1(VALU_DEP_1)
	v_fma_f64 v[69:70], v[24:25], v[40:41], -v[48:49]
	v_mul_f64 v[24:25], v[24:25], v[42:43]
	v_fma_f64 v[85:86], v[26:27], v[40:41], v[24:25]
	v_add_co_u32 v24, s0, s2, v6
	s_delay_alu instid0(VALU_DEP_1) | instskip(SKIP_4) | instid1(VALU_DEP_1)
	v_add_co_ci_u32_e64 v25, null, s3, 0, s0
	s_clause 0x1
	global_load_b128 v[52:55], v[24:25], off offset:2048
	global_load_b128 v[48:51], v[24:25], off offset:2064
	v_mul_u32_u24_e32 v6, 0xe38f, v77
	v_lshrrev_b32_e32 v6, 23, v6
	s_delay_alu instid0(VALU_DEP_1) | instskip(NEXT) | instid1(VALU_DEP_1)
	v_mul_lo_u16 v7, 0x90, v6
	v_sub_nc_u16 v7, v160, v7
	s_waitcnt vmcnt(1)
	v_mul_f64 v[24:25], v[58:59], v[54:55]
	s_delay_alu instid0(VALU_DEP_1) | instskip(SKIP_1) | instid1(VALU_DEP_1)
	v_fma_f64 v[93:94], v[56:57], v[52:53], -v[24:25]
	v_mul_f64 v[24:25], v[56:57], v[54:55]
	v_fma_f64 v[128:129], v[58:59], v[52:53], v[24:25]
	s_waitcnt vmcnt(0) lgkmcnt(0)
	v_mul_f64 v[24:25], v[62:63], v[50:51]
	s_delay_alu instid0(VALU_DEP_1) | instskip(SKIP_1) | instid1(VALU_DEP_1)
	v_fma_f64 v[130:131], v[60:61], v[48:49], -v[24:25]
	v_mul_f64 v[24:25], v[60:61], v[50:51]
	v_fma_f64 v[132:133], v[62:63], v[48:49], v[24:25]
	v_lshlrev_b16 v24, 5, v7
	s_delay_alu instid0(VALU_DEP_1) | instskip(NEXT) | instid1(VALU_DEP_1)
	v_and_b32_e32 v24, 0xffff, v24
	v_add_co_u32 v24, s0, s2, v24
	s_delay_alu instid0(VALU_DEP_1)
	v_add_co_ci_u32_e64 v25, null, s3, 0, s0
	s_clause 0x1
	global_load_b128 v[60:63], v[24:25], off offset:2048
	global_load_b128 v[56:59], v[24:25], off offset:2064
	s_waitcnt vmcnt(1)
	v_mul_f64 v[24:25], v[67:68], v[62:63]
	s_delay_alu instid0(VALU_DEP_1) | instskip(SKIP_1) | instid1(VALU_DEP_1)
	v_fma_f64 v[145:146], v[65:66], v[60:61], -v[24:25]
	v_mul_f64 v[24:25], v[65:66], v[62:63]
	v_fma_f64 v[147:148], v[67:68], v[60:61], v[24:25]
	ds_load_b128 v[24:27], v228 offset:57024
	ds_load_b128 v[65:68], v228
	ds_load_b128 v[77:80], v228 offset:5184
	ds_load_b128 v[81:84], v228 offset:10368
	s_waitcnt vmcnt(0) lgkmcnt(0)
	s_barrier
	buffer_gl0_inv
	v_mul_f64 v[73:74], v[26:27], v[58:59]
	s_delay_alu instid0(VALU_DEP_1) | instskip(SKIP_1) | instid1(VALU_DEP_1)
	v_fma_f64 v[149:150], v[24:25], v[56:57], -v[73:74]
	v_mul_f64 v[24:25], v[24:25], v[58:59]
	v_fma_f64 v[161:162], v[26:27], v[56:57], v[24:25]
	v_add_f64 v[24:25], v[8:9], v[12:13]
	s_delay_alu instid0(VALU_DEP_1) | instskip(SKIP_3) | instid1(VALU_DEP_3)
	v_fma_f64 v[73:74], v[24:25], -0.5, v[65:66]
	v_add_f64 v[24:25], v[10:11], v[14:15]
	v_add_f64 v[65:66], v[65:66], v[8:9]
	v_add_f64 v[8:9], v[8:9], -v[12:13]
	v_fma_f64 v[75:76], v[24:25], -0.5, v[67:68]
	v_add_f64 v[24:25], v[67:68], v[10:11]
	v_add_f64 v[10:11], v[10:11], -v[14:15]
	s_delay_alu instid0(VALU_DEP_3) | instskip(NEXT) | instid1(VALU_DEP_3)
	v_fma_f64 v[67:68], v[8:9], s[10:11], v[75:76]
	v_add_f64 v[26:27], v[24:25], v[14:15]
	v_add_f64 v[24:25], v[65:66], v[12:13]
	s_delay_alu instid0(VALU_DEP_4)
	v_fma_f64 v[65:66], v[10:11], s[8:9], v[73:74]
	v_fma_f64 v[73:74], v[10:11], s[10:11], v[73:74]
	;; [unrolled: 1-line block ×3, first 2 shown]
	v_add_f64 v[8:9], v[16:17], v[69:70]
	v_add_f64 v[10:11], v[18:19], v[85:86]
	;; [unrolled: 1-line block ×3, first 2 shown]
	v_add_f64 v[18:19], v[18:19], -v[85:86]
	v_add_f64 v[14:15], v[77:78], v[16:17]
	ds_store_b128 v0, v[24:27]
	ds_store_b128 v0, v[65:68] offset:2304
	scratch_store_b32 off, v0, off offset:44 ; 4-byte Folded Spill
	ds_store_b128 v0, v[73:76] offset:4608
	v_fma_f64 v[8:9], v[8:9], -0.5, v[77:78]
	v_fma_f64 v[10:11], v[10:11], -0.5, v[79:80]
	v_add_f64 v[79:80], v[12:13], v[85:86]
	v_add_f64 v[12:13], v[16:17], -v[69:70]
	v_add_f64 v[77:78], v[14:15], v[69:70]
	v_add_f64 v[14:15], v[81:82], v[93:94]
	v_add_f64 v[16:17], v[128:129], -v[132:133]
	v_mad_u16 v0, 0x1b0, v2, v3
	s_delay_alu instid0(VALU_DEP_1) | instskip(NEXT) | instid1(VALU_DEP_1)
	v_and_b32_e32 v0, 0xffff, v0
	v_lshlrev_b32_e32 v0, 4, v0
	v_fma_f64 v[85:86], v[18:19], s[8:9], v[8:9]
	v_fma_f64 v[89:90], v[18:19], s[10:11], v[8:9]
	v_add_f64 v[8:9], v[93:94], v[130:131]
	v_fma_f64 v[87:88], v[12:13], s[10:11], v[10:11]
	v_fma_f64 v[91:92], v[12:13], s[8:9], v[10:11]
	v_add_f64 v[10:11], v[128:129], v[132:133]
	v_add_f64 v[12:13], v[83:84], v[128:129]
	ds_store_b128 v0, v[77:80]
	ds_store_b128 v0, v[85:88] offset:2304
	v_fma_f64 v[8:9], v[8:9], -0.5, v[81:82]
	v_add_f64 v[81:82], v[14:15], v[130:131]
	v_fma_f64 v[10:11], v[10:11], -0.5, v[83:84]
	v_add_f64 v[83:84], v[12:13], v[132:133]
	v_add_f64 v[12:13], v[93:94], -v[130:131]
	v_add_f64 v[14:15], v[28:29], v[145:146]
	scratch_store_b32 off, v0, off offset:40 ; 4-byte Folded Spill
	ds_store_b128 v0, v[89:92] offset:4608
	v_mad_u16 v0, 0x1b0, v4, v5
	s_delay_alu instid0(VALU_DEP_1) | instskip(NEXT) | instid1(VALU_DEP_1)
	v_and_b32_e32 v0, 0xffff, v0
	v_lshlrev_b32_e32 v0, 4, v0
	v_fma_f64 v[128:129], v[16:17], s[8:9], v[8:9]
	v_fma_f64 v[132:133], v[16:17], s[10:11], v[8:9]
	v_add_f64 v[8:9], v[145:146], v[149:150]
	v_add_f64 v[16:17], v[147:148], -v[161:162]
	v_fma_f64 v[130:131], v[12:13], s[10:11], v[10:11]
	v_fma_f64 v[134:135], v[12:13], s[8:9], v[10:11]
	v_add_f64 v[10:11], v[147:148], v[161:162]
	v_add_f64 v[12:13], v[30:31], v[147:148]
	ds_store_b128 v0, v[81:84]
	ds_store_b128 v0, v[128:131] offset:2304
	v_fma_f64 v[8:9], v[8:9], -0.5, v[28:29]
	v_add_f64 v[28:29], v[14:15], v[149:150]
	v_fma_f64 v[10:11], v[10:11], -0.5, v[30:31]
	v_add_f64 v[30:31], v[12:13], v[161:162]
	v_add_f64 v[12:13], v[145:146], -v[149:150]
	scratch_store_b32 off, v0, off offset:36 ; 4-byte Folded Spill
	ds_store_b128 v0, v[132:135] offset:4608
	v_mad_u16 v0, 0x1b0, v6, v7
	s_delay_alu instid0(VALU_DEP_1) | instskip(NEXT) | instid1(VALU_DEP_1)
	v_and_b32_e32 v0, 0xffff, v0
	v_lshlrev_b32_e32 v0, 4, v0
	v_fma_f64 v[161:162], v[16:17], s[10:11], v[8:9]
	v_fma_f64 v[145:146], v[16:17], s[8:9], v[8:9]
	;; [unrolled: 1-line block ×4, first 2 shown]
	ds_store_b128 v0, v[28:31]
	ds_store_b128 v0, v[145:148] offset:2304
	scratch_store_b32 off, v0, off offset:32 ; 4-byte Folded Spill
	ds_store_b128 v0, v[161:164] offset:4608
	v_lshlrev_b32_e32 v0, 5, v226
	s_waitcnt lgkmcnt(0)
	s_waitcnt_vscnt null, 0x0
	s_barrier
	buffer_gl0_inv
	v_add_co_u32 v128, s0, s2, v0
	s_delay_alu instid0(VALU_DEP_1) | instskip(NEXT) | instid1(VALU_DEP_2)
	v_add_co_ci_u32_e64 v129, null, s3, 0, s0
	v_add_co_u32 v8, s0, 0x1000, v128
	s_delay_alu instid0(VALU_DEP_1) | instskip(SKIP_1) | instid1(VALU_DEP_1)
	v_add_co_ci_u32_e64 v9, s0, 0, v129, s0
	v_add_co_u32 v10, s0, 0x1a00, v128
	v_add_co_ci_u32_e64 v11, s0, 0, v129, s0
	s_clause 0x1
	global_load_b128 v[28:31], v[8:9], off offset:2560
	global_load_b128 v[24:27], v[10:11], off offset:16
	ds_load_b128 v[65:68], v228 offset:20736
	ds_load_b128 v[92:95], v228 offset:15552
	v_add_co_u32 v0, s0, 0xffffff94, v226
	s_delay_alu instid0(VALU_DEP_1) | instskip(SKIP_1) | instid1(VALU_DEP_1)
	v_add_co_ci_u32_e64 v1, null, 0, -1, s0
	v_cmp_gt_u16_e64 s0, 0x6c, v226
	v_cndmask_b32_e64 v17, v1, v64, s0
	s_delay_alu instid0(VALU_DEP_4) | instskip(NEXT) | instid1(VALU_DEP_1)
	v_cndmask_b32_e64 v16, v0, v72, s0
	v_lshlrev_b64 v[17:18], 5, v[16:17]
	s_delay_alu instid0(VALU_DEP_1) | instskip(NEXT) | instid1(VALU_DEP_1)
	v_add_co_u32 v0, s0, s2, v17
	v_add_co_ci_u32_e64 v1, s0, s3, v18, s0
	s_delay_alu instid0(VALU_DEP_2) | instskip(NEXT) | instid1(VALU_DEP_1)
	v_add_co_u32 v17, s0, 0x1000, v0
	v_add_co_ci_u32_e64 v18, s0, 0, v1, s0
	v_add_co_u32 v64, s0, 0x1a00, v0
	v_lshrrev_b16 v0, 4, v144
	s_delay_alu instid0(VALU_DEP_1) | instskip(NEXT) | instid1(VALU_DEP_1)
	v_and_b32_e32 v0, 0xffff, v0
	v_mul_u32_u24_e32 v0, 0x12f7, v0
	s_delay_alu instid0(VALU_DEP_1) | instskip(SKIP_3) | instid1(VALU_DEP_2)
	v_lshrrev_b32_e32 v0, 17, v0
	s_waitcnt vmcnt(1) lgkmcnt(1)
	v_mul_f64 v[8:9], v[67:68], v[30:31]
	v_mul_f64 v[10:11], v[65:66], v[30:31]
	v_fma_f64 v[8:9], v[65:66], v[28:29], -v[8:9]
	s_delay_alu instid0(VALU_DEP_2)
	v_fma_f64 v[10:11], v[67:68], v[28:29], v[10:11]
	ds_load_b128 v[65:68], v228 offset:41472
	ds_load_b128 v[130:133], v228 offset:36288
	s_waitcnt vmcnt(0) lgkmcnt(1)
	v_mul_f64 v[12:13], v[67:68], v[26:27]
	v_mul_f64 v[14:15], v[65:66], v[26:27]
	s_delay_alu instid0(VALU_DEP_2) | instskip(SKIP_1) | instid1(VALU_DEP_3)
	v_fma_f64 v[12:13], v[65:66], v[24:25], -v[12:13]
	v_add_co_ci_u32_e64 v65, s0, 0, v1, s0
	v_fma_f64 v[14:15], v[67:68], v[24:25], v[14:15]
	s_clause 0x1
	global_load_b128 v[68:71], v[17:18], off offset:2560
	global_load_b128 v[64:67], v[64:65], off offset:16
	ds_load_b128 v[73:76], v228 offset:25920
	ds_load_b128 v[84:87], v228 offset:31104
	v_mul_lo_u16 v1, 0x1b0, v0
	s_delay_alu instid0(VALU_DEP_1) | instskip(NEXT) | instid1(VALU_DEP_1)
	v_sub_nc_u16 v1, v144, v1
	v_lshlrev_b16 v2, 5, v1
	v_mad_u16 v0, 0x510, v0, v1
	s_delay_alu instid0(VALU_DEP_2) | instskip(NEXT) | instid1(VALU_DEP_2)
	v_and_b32_e32 v2, 0xffff, v2
	v_and_b32_e32 v0, 0xffff, v0
	s_delay_alu instid0(VALU_DEP_2) | instskip(NEXT) | instid1(VALU_DEP_1)
	v_add_co_u32 v2, s0, s2, v2
	v_add_co_ci_u32_e64 v3, null, s3, 0, s0
	s_delay_alu instid0(VALU_DEP_3) | instskip(SKIP_2) | instid1(VALU_DEP_1)
	v_lshlrev_b32_e32 v0, 4, v0
	s_waitcnt vmcnt(1) lgkmcnt(1)
	v_mul_f64 v[17:18], v[75:76], v[70:71]
	v_fma_f64 v[17:18], v[73:74], v[68:69], -v[17:18]
	v_mul_f64 v[73:74], v[73:74], v[70:71]
	s_delay_alu instid0(VALU_DEP_1) | instskip(SKIP_4) | instid1(VALU_DEP_1)
	v_fma_f64 v[134:135], v[75:76], v[68:69], v[73:74]
	ds_load_b128 v[73:76], v228 offset:46656
	ds_load_b128 v[88:91], v228 offset:51840
	s_waitcnt vmcnt(0) lgkmcnt(1)
	v_mul_f64 v[77:78], v[75:76], v[66:67]
	v_fma_f64 v[149:150], v[73:74], v[64:65], -v[77:78]
	v_mul_f64 v[73:74], v[73:74], v[66:67]
	s_delay_alu instid0(VALU_DEP_1) | instskip(SKIP_1) | instid1(VALU_DEP_1)
	v_fma_f64 v[73:74], v[75:76], v[64:65], v[73:74]
	v_add_co_u32 v75, s0, 0x1000, v2
	v_add_co_ci_u32_e64 v76, s0, 0, v3, s0
	v_add_co_u32 v77, s0, 0x1a00, v2
	s_delay_alu instid0(VALU_DEP_1) | instskip(SKIP_4) | instid1(VALU_DEP_1)
	v_add_co_ci_u32_e64 v78, s0, 0, v3, s0
	s_clause 0x1
	global_load_b128 v[80:83], v[75:76], off offset:2560
	global_load_b128 v[76:79], v[77:78], off offset:16
	v_lshrrev_b16 v2, 4, v160
	v_and_b32_e32 v2, 0xffff, v2
	s_delay_alu instid0(VALU_DEP_1) | instskip(NEXT) | instid1(VALU_DEP_1)
	v_mul_u32_u24_e32 v2, 0x12f7, v2
	v_lshrrev_b32_e32 v2, 17, v2
	s_delay_alu instid0(VALU_DEP_1) | instskip(NEXT) | instid1(VALU_DEP_1)
	v_mul_lo_u16 v2, 0x1b0, v2
	v_sub_nc_u16 v2, v160, v2
	s_delay_alu instid0(VALU_DEP_1) | instskip(NEXT) | instid1(VALU_DEP_1)
	v_lshlrev_b16 v3, 5, v2
	v_and_b32_e32 v3, 0xffff, v3
	s_delay_alu instid0(VALU_DEP_1) | instskip(NEXT) | instid1(VALU_DEP_1)
	v_add_co_u32 v3, s0, s2, v3
	v_add_co_ci_u32_e64 v4, null, s3, 0, s0
	s_waitcnt vmcnt(1)
	v_mul_f64 v[145:146], v[86:87], v[82:83]
	s_delay_alu instid0(VALU_DEP_1) | instskip(SKIP_1) | instid1(VALU_DEP_1)
	v_fma_f64 v[165:166], v[84:85], v[80:81], -v[145:146]
	v_mul_f64 v[84:85], v[84:85], v[82:83]
	v_fma_f64 v[192:193], v[86:87], v[80:81], v[84:85]
	s_waitcnt vmcnt(0) lgkmcnt(0)
	v_mul_f64 v[84:85], v[90:91], v[78:79]
	s_delay_alu instid0(VALU_DEP_1) | instskip(SKIP_1) | instid1(VALU_DEP_1)
	v_fma_f64 v[194:195], v[88:89], v[76:77], -v[84:85]
	v_mul_f64 v[84:85], v[88:89], v[78:79]
	v_fma_f64 v[196:197], v[90:91], v[76:77], v[84:85]
	v_add_co_u32 v84, s0, 0x1000, v3
	s_delay_alu instid0(VALU_DEP_1) | instskip(SKIP_1) | instid1(VALU_DEP_1)
	v_add_co_ci_u32_e64 v85, s0, 0, v4, s0
	v_add_co_u32 v88, s0, 0x1a00, v3
	v_add_co_ci_u32_e64 v89, s0, 0, v4, s0
	s_clause 0x1
	global_load_b128 v[84:87], v[84:85], off offset:2560
	global_load_b128 v[88:91], v[88:89], off offset:16
	v_cmp_lt_u16_e64 s0, 0x6b, v226
	s_delay_alu instid0(VALU_DEP_1) | instskip(NEXT) | instid1(VALU_DEP_1)
	v_cndmask_b32_e64 v3, 0, 0x510, s0
	v_add_lshl_u32 v3, v16, v3, 4
	s_waitcnt vmcnt(1)
	v_mul_f64 v[145:146], v[132:133], v[86:87]
	s_delay_alu instid0(VALU_DEP_1) | instskip(SKIP_1) | instid1(VALU_DEP_1)
	v_fma_f64 v[200:201], v[130:131], v[84:85], -v[145:146]
	v_mul_f64 v[130:131], v[130:131], v[86:87]
	v_fma_f64 v[202:203], v[132:133], v[84:85], v[130:131]
	ds_load_b128 v[130:133], v228 offset:57024
	ds_load_b128 v[145:148], v228
	ds_load_b128 v[176:179], v228 offset:5184
	ds_load_b128 v[180:183], v228 offset:10368
	s_waitcnt vmcnt(0) lgkmcnt(0)
	s_barrier
	buffer_gl0_inv
	v_mul_f64 v[161:162], v[132:133], v[90:91]
	s_delay_alu instid0(VALU_DEP_1) | instskip(SKIP_1) | instid1(VALU_DEP_1)
	v_fma_f64 v[204:205], v[130:131], v[88:89], -v[161:162]
	v_mul_f64 v[130:131], v[130:131], v[90:91]
	v_fma_f64 v[206:207], v[132:133], v[88:89], v[130:131]
	v_add_f64 v[130:131], v[8:9], v[12:13]
	s_delay_alu instid0(VALU_DEP_1) | instskip(SKIP_3) | instid1(VALU_DEP_3)
	v_fma_f64 v[161:162], v[130:131], -0.5, v[145:146]
	v_add_f64 v[130:131], v[10:11], v[14:15]
	v_add_f64 v[145:146], v[145:146], v[8:9]
	v_add_f64 v[8:9], v[8:9], -v[12:13]
	v_fma_f64 v[163:164], v[130:131], -0.5, v[147:148]
	v_add_f64 v[130:131], v[147:148], v[10:11]
	v_add_f64 v[10:11], v[10:11], -v[14:15]
	s_delay_alu instid0(VALU_DEP_3) | instskip(NEXT) | instid1(VALU_DEP_3)
	v_fma_f64 v[147:148], v[8:9], s[10:11], v[163:164]
	v_add_f64 v[132:133], v[130:131], v[14:15]
	v_add_f64 v[130:131], v[145:146], v[12:13]
	s_delay_alu instid0(VALU_DEP_4)
	v_fma_f64 v[145:146], v[10:11], s[8:9], v[161:162]
	v_fma_f64 v[161:162], v[10:11], s[10:11], v[161:162]
	;; [unrolled: 1-line block ×3, first 2 shown]
	v_add_f64 v[8:9], v[17:18], v[149:150]
	v_add_f64 v[10:11], v[134:135], v[73:74]
	;; [unrolled: 1-line block ×3, first 2 shown]
	v_add_f64 v[134:135], v[134:135], -v[73:74]
	v_add_f64 v[14:15], v[176:177], v[17:18]
	ds_store_b128 v228, v[130:133]
	ds_store_b128 v228, v[145:148] offset:6912
	ds_store_b128 v228, v[161:164] offset:13824
	v_fma_f64 v[8:9], v[8:9], -0.5, v[176:177]
	v_fma_f64 v[10:11], v[10:11], -0.5, v[178:179]
	v_add_f64 v[178:179], v[12:13], v[73:74]
	v_add_f64 v[12:13], v[17:18], -v[149:150]
	v_add_f64 v[176:177], v[14:15], v[149:150]
	v_add_f64 v[14:15], v[180:181], v[165:166]
	v_add_f64 v[17:18], v[192:193], -v[196:197]
	v_fma_f64 v[184:185], v[134:135], s[8:9], v[8:9]
	v_fma_f64 v[188:189], v[134:135], s[10:11], v[8:9]
	v_add_f64 v[8:9], v[165:166], v[194:195]
	v_fma_f64 v[186:187], v[12:13], s[10:11], v[10:11]
	v_fma_f64 v[190:191], v[12:13], s[8:9], v[10:11]
	v_add_f64 v[10:11], v[192:193], v[196:197]
	v_add_f64 v[12:13], v[182:183], v[192:193]
	ds_store_b128 v3, v[176:179]
	ds_store_b128 v3, v[184:187] offset:6912
	v_fma_f64 v[8:9], v[8:9], -0.5, v[180:181]
	v_add_f64 v[180:181], v[14:15], v[194:195]
	v_fma_f64 v[10:11], v[10:11], -0.5, v[182:183]
	v_add_f64 v[182:183], v[12:13], v[196:197]
	v_add_f64 v[12:13], v[165:166], -v[194:195]
	v_add_f64 v[14:15], v[92:93], v[200:201]
	scratch_store_b32 off, v3, off offset:72 ; 4-byte Folded Spill
	ds_store_b128 v3, v[188:191] offset:13824
	v_fma_f64 v[192:193], v[17:18], s[8:9], v[8:9]
	v_fma_f64 v[196:197], v[17:18], s[10:11], v[8:9]
	v_add_f64 v[8:9], v[200:201], v[204:205]
	v_add_f64 v[17:18], v[202:203], -v[206:207]
	v_fma_f64 v[194:195], v[12:13], s[10:11], v[10:11]
	v_fma_f64 v[198:199], v[12:13], s[8:9], v[10:11]
	v_add_f64 v[10:11], v[202:203], v[206:207]
	v_add_f64 v[12:13], v[94:95], v[202:203]
	ds_store_b128 v0, v[180:183]
	ds_store_b128 v0, v[192:195] offset:6912
	v_fma_f64 v[8:9], v[8:9], -0.5, v[92:93]
	v_add_f64 v[92:93], v[14:15], v[204:205]
	v_fma_f64 v[10:11], v[10:11], -0.5, v[94:95]
	v_add_f64 v[94:95], v[12:13], v[206:207]
	v_add_f64 v[12:13], v[200:201], -v[204:205]
	scratch_store_b32 off, v0, off offset:68 ; 4-byte Folded Spill
	ds_store_b128 v0, v[196:199] offset:13824
	v_and_b32_e32 v0, 0xffff, v2
	s_delay_alu instid0(VALU_DEP_1)
	v_lshlrev_b32_e32 v0, 4, v0
	v_fma_f64 v[204:205], v[17:18], s[10:11], v[8:9]
	v_fma_f64 v[200:201], v[17:18], s[8:9], v[8:9]
	;; [unrolled: 1-line block ×4, first 2 shown]
	ds_store_b128 v0, v[92:95] offset:41472
	ds_store_b128 v0, v[200:203] offset:48384
	scratch_store_b32 off, v0, off offset:64 ; 4-byte Folded Spill
	ds_store_b128 v0, v[204:207] offset:55296
	v_lshlrev_b32_e32 v0, 5, v72
	s_waitcnt lgkmcnt(0)
	s_waitcnt_vscnt null, 0x0
	s_barrier
	buffer_gl0_inv
	v_add_co_u32 v0, s0, s2, v0
	s_delay_alu instid0(VALU_DEP_1) | instskip(NEXT) | instid1(VALU_DEP_2)
	v_add_co_ci_u32_e64 v1, null, s3, 0, s0
	v_add_co_u32 v8, s0, 0x5000, v0
	s_delay_alu instid0(VALU_DEP_1)
	v_add_co_ci_u32_e64 v9, s0, 0, v1, s0
	s_clause 0x1
	global_load_b128 v[72:75], v[8:9], off
	global_load_b128 v[92:95], v[8:9], off offset:16
	ds_load_b128 v[130:133], v228 offset:25920
	ds_load_b128 v[161:164], v228 offset:31104
	v_add_co_u32 v16, s0, 0x5000, v128
	s_delay_alu instid0(VALU_DEP_1) | instskip(SKIP_1) | instid1(VALU_DEP_1)
	v_add_co_ci_u32_e64 v17, s0, 0, v129, s0
	v_lshlrev_b32_e32 v0, 5, v144
	v_add_co_u32 v0, s0, s2, v0
	s_delay_alu instid0(VALU_DEP_1) | instskip(NEXT) | instid1(VALU_DEP_2)
	v_add_co_ci_u32_e64 v1, null, s3, 0, s0
	v_add_co_u32 v144, s0, 0x5000, v0
	v_lshlrev_b32_e32 v0, 5, v160
	s_waitcnt vmcnt(1) lgkmcnt(1)
	v_mul_f64 v[8:9], v[132:133], v[74:75]
	v_mul_f64 v[10:11], v[130:131], v[74:75]
	s_delay_alu instid0(VALU_DEP_2) | instskip(NEXT) | instid1(VALU_DEP_2)
	v_fma_f64 v[8:9], v[130:131], v[72:73], -v[8:9]
	v_fma_f64 v[10:11], v[132:133], v[72:73], v[10:11]
	ds_load_b128 v[130:133], v228 offset:46656
	ds_load_b128 v[176:179], v228 offset:51840
	s_waitcnt vmcnt(0) lgkmcnt(1)
	v_mul_f64 v[12:13], v[132:133], v[94:95]
	v_mul_f64 v[14:15], v[130:131], v[94:95]
	s_delay_alu instid0(VALU_DEP_2) | instskip(NEXT) | instid1(VALU_DEP_2)
	v_fma_f64 v[12:13], v[130:131], v[92:93], -v[12:13]
	v_fma_f64 v[14:15], v[132:133], v[92:93], v[14:15]
	s_clause 0x1
	global_load_b128 v[128:131], v[16:17], off
	global_load_b128 v[132:135], v[16:17], off offset:16
	ds_load_b128 v[145:148], v228 offset:20736
	ds_load_b128 v[212:215], v228 offset:15552
	s_waitcnt vmcnt(1) lgkmcnt(1)
	v_mul_f64 v[16:17], v[147:148], v[130:131]
	v_mul_f64 v[18:19], v[145:146], v[130:131]
	s_delay_alu instid0(VALU_DEP_2) | instskip(NEXT) | instid1(VALU_DEP_2)
	v_fma_f64 v[16:17], v[145:146], v[128:129], -v[16:17]
	v_fma_f64 v[18:19], v[147:148], v[128:129], v[18:19]
	ds_load_b128 v[145:148], v228 offset:41472
	ds_load_b128 v[180:183], v228 offset:36288
	s_waitcnt vmcnt(0) lgkmcnt(1)
	v_mul_f64 v[149:150], v[147:148], v[134:135]
	s_delay_alu instid0(VALU_DEP_1) | instskip(SKIP_1) | instid1(VALU_DEP_1)
	v_fma_f64 v[216:217], v[145:146], v[132:133], -v[149:150]
	v_mul_f64 v[145:146], v[145:146], v[134:135]
	v_fma_f64 v[208:209], v[147:148], v[132:133], v[145:146]
	v_add_co_ci_u32_e64 v145, s0, 0, v1, s0
	s_clause 0x1
	global_load_b128 v[148:151], v[144:145], off
	global_load_b128 v[144:147], v[144:145], off offset:16
	v_add_co_u32 v0, s0, s2, v0
	s_delay_alu instid0(VALU_DEP_1) | instskip(NEXT) | instid1(VALU_DEP_2)
	v_add_co_ci_u32_e64 v1, null, s3, 0, s0
	v_add_co_u32 v160, s0, 0x5000, v0
	s_waitcnt vmcnt(1)
	v_mul_f64 v[165:166], v[163:164], v[150:151]
	s_delay_alu instid0(VALU_DEP_1) | instskip(SKIP_1) | instid1(VALU_DEP_1)
	v_fma_f64 v[200:201], v[161:162], v[148:149], -v[165:166]
	v_mul_f64 v[161:162], v[161:162], v[150:151]
	v_fma_f64 v[196:197], v[163:164], v[148:149], v[161:162]
	s_waitcnt vmcnt(0)
	v_mul_f64 v[161:162], v[178:179], v[146:147]
	s_delay_alu instid0(VALU_DEP_1) | instskip(SKIP_1) | instid1(VALU_DEP_1)
	v_fma_f64 v[202:203], v[176:177], v[144:145], -v[161:162]
	v_mul_f64 v[161:162], v[176:177], v[146:147]
	v_fma_f64 v[198:199], v[178:179], v[144:145], v[161:162]
	v_add_co_ci_u32_e64 v161, s0, 0, v1, s0
	s_clause 0x1
	global_load_b128 v[164:167], v[160:161], off
	global_load_b128 v[160:163], v[160:161], off offset:16
	s_waitcnt vmcnt(1) lgkmcnt(0)
	v_mul_f64 v[176:177], v[182:183], v[166:167]
	s_delay_alu instid0(VALU_DEP_1) | instskip(SKIP_1) | instid1(VALU_DEP_1)
	v_fma_f64 v[218:219], v[180:181], v[164:165], -v[176:177]
	v_mul_f64 v[176:177], v[180:181], v[166:167]
	v_fma_f64 v[220:221], v[182:183], v[164:165], v[176:177]
	ds_load_b128 v[176:179], v228 offset:57024
	ds_load_b128 v[184:187], v228
	s_waitcnt vmcnt(0) lgkmcnt(1)
	v_mul_f64 v[180:181], v[178:179], v[162:163]
	s_delay_alu instid0(VALU_DEP_1) | instskip(SKIP_2) | instid1(VALU_DEP_2)
	v_fma_f64 v[222:223], v[176:177], v[160:161], -v[180:181]
	v_mul_f64 v[176:177], v[176:177], v[162:163]
	v_add_f64 v[180:181], v[8:9], v[12:13]
	v_fma_f64 v[229:230], v[178:179], v[160:161], v[176:177]
	ds_load_b128 v[176:179], v228 offset:5184
	ds_load_b128 v[192:195], v228 offset:10368
	s_waitcnt lgkmcnt(1)
	v_fma_f64 v[182:183], v[180:181], -0.5, v[176:177]
	v_add_f64 v[180:181], v[10:11], v[14:15]
	v_add_f64 v[176:177], v[176:177], v[8:9]
	v_add_f64 v[8:9], v[8:9], -v[12:13]
	s_delay_alu instid0(VALU_DEP_3)
	v_fma_f64 v[190:191], v[180:181], -0.5, v[178:179]
	v_add_f64 v[178:179], v[178:179], v[10:11]
	v_add_f64 v[10:11], v[10:11], -v[14:15]
	v_add_f64 v[176:177], v[176:177], v[12:13]
	s_waitcnt lgkmcnt(0)
	v_add_f64 v[12:13], v[194:195], v[196:197]
	s_delay_alu instid0(VALU_DEP_4) | instskip(NEXT) | instid1(VALU_DEP_4)
	v_add_f64 v[178:179], v[178:179], v[14:15]
	v_fma_f64 v[180:181], v[10:11], s[8:9], v[182:183]
	v_fma_f64 v[188:189], v[10:11], s[10:11], v[182:183]
	;; [unrolled: 1-line block ×4, first 2 shown]
	v_add_f64 v[8:9], v[200:201], v[202:203]
	v_add_f64 v[10:11], v[196:197], v[198:199]
	;; [unrolled: 1-line block ×3, first 2 shown]
	s_delay_alu instid0(VALU_DEP_3) | instskip(NEXT) | instid1(VALU_DEP_3)
	v_fma_f64 v[8:9], v[8:9], -0.5, v[192:193]
	v_fma_f64 v[10:11], v[10:11], -0.5, v[194:195]
	v_add_f64 v[192:193], v[196:197], -v[198:199]
	v_add_f64 v[198:199], v[12:13], v[198:199]
	v_add_f64 v[12:13], v[200:201], -v[202:203]
	v_add_f64 v[196:197], v[14:15], v[202:203]
	v_add_f64 v[14:15], v[184:185], v[16:17]
	v_fma_f64 v[200:201], v[192:193], s[8:9], v[8:9]
	v_fma_f64 v[204:205], v[192:193], s[10:11], v[8:9]
	;; [unrolled: 1-line block ×4, first 2 shown]
	v_add_f64 v[8:9], v[16:17], v[216:217]
	v_add_f64 v[10:11], v[18:19], v[208:209]
	;; [unrolled: 1-line block ×3, first 2 shown]
	v_add_f64 v[18:19], v[18:19], -v[208:209]
	s_delay_alu instid0(VALU_DEP_4) | instskip(NEXT) | instid1(VALU_DEP_4)
	v_fma_f64 v[8:9], v[8:9], -0.5, v[184:185]
	v_fma_f64 v[10:11], v[10:11], -0.5, v[186:187]
	s_delay_alu instid0(VALU_DEP_4)
	v_add_f64 v[210:211], v[12:13], v[208:209]
	v_add_f64 v[12:13], v[16:17], -v[216:217]
	v_add_f64 v[208:209], v[14:15], v[216:217]
	v_add_f64 v[14:15], v[212:213], v[218:219]
	v_add_f64 v[16:17], v[220:221], -v[229:230]
	v_fma_f64 v[184:185], v[18:19], s[8:9], v[8:9]
	v_fma_f64 v[192:193], v[18:19], s[10:11], v[8:9]
	v_add_f64 v[8:9], v[218:219], v[222:223]
	v_fma_f64 v[186:187], v[12:13], s[10:11], v[10:11]
	v_fma_f64 v[194:195], v[12:13], s[8:9], v[10:11]
	v_add_f64 v[10:11], v[220:221], v[229:230]
	v_add_f64 v[12:13], v[214:215], v[220:221]
	v_fma_f64 v[8:9], v[8:9], -0.5, v[212:213]
	v_add_f64 v[212:213], v[14:15], v[222:223]
	s_delay_alu instid0(VALU_DEP_4) | instskip(NEXT) | instid1(VALU_DEP_4)
	v_fma_f64 v[10:11], v[10:11], -0.5, v[214:215]
	v_add_f64 v[214:215], v[12:13], v[229:230]
	v_add_f64 v[12:13], v[218:219], -v[222:223]
	v_fma_f64 v[220:221], v[16:17], s[8:9], v[8:9]
	v_fma_f64 v[216:217], v[16:17], s[10:11], v[8:9]
	s_delay_alu instid0(VALU_DEP_3)
	v_fma_f64 v[222:223], v[12:13], s[10:11], v[10:11]
	v_fma_f64 v[218:219], v[12:13], s[8:9], v[10:11]
	ds_store_b128 v228, v[176:179] offset:5184
	ds_store_b128 v228, v[196:199] offset:10368
	;; [unrolled: 1-line block ×10, first 2 shown]
	ds_store_b128 v228, v[208:211]
	ds_store_b128 v228, v[216:219] offset:57024
	s_waitcnt lgkmcnt(0)
	s_barrier
	buffer_gl0_inv
	s_and_saveexec_b32 s1, vcc_lo
	s_cbranch_execz .LBB0_9
; %bb.8:
	s_clause 0x1
	scratch_store_b128 off, v[241:244], off offset:112
	scratch_store_b128 off, v[231:234], off offset:96
	v_add_co_u32 v244, s0, s14, v224
	s_delay_alu instid0(VALU_DEP_1) | instskip(SKIP_1) | instid1(VALU_DEP_3)
	v_add_co_ci_u32_e64 v245, null, s15, 0, s0
	v_dual_mov_b32 v1, v237 :: v_dual_mov_b32 v2, v238
	v_add_co_u32 v8, s0, 0xf000, v244
	s_delay_alu instid0(VALU_DEP_1) | instskip(SKIP_4) | instid1(VALU_DEP_1)
	v_add_co_ci_u32_e64 v9, s0, 0, v245, s0
	v_dual_mov_b32 v3, v239 :: v_dual_mov_b32 v4, v240
	v_mov_b32_e32 v0, v226
	global_load_b128 v[246:249], v[8:9], off offset:768
	v_add_co_u32 v8, s0, 0xf300, v244
	v_add_co_ci_u32_e64 v9, s0, 0, v245, s0
	global_load_b128 v[250:253], v[8:9], off offset:3888
	v_add_co_u32 v8, s0, 0x11000, v244
	s_delay_alu instid0(VALU_DEP_1) | instskip(SKIP_2) | instid1(VALU_DEP_1)
	v_add_co_ci_u32_e64 v9, s0, 0, v245, s0
	global_load_b128 v[229:232], v[8:9], off offset:352
	v_add_co_u32 v8, s0, 0x12000, v244
	v_add_co_ci_u32_e64 v9, s0, 0, v245, s0
	s_clause 0x1
	global_load_b128 v[233:236], v[8:9], off offset:144
	global_load_b128 v[237:240], v[8:9], off offset:4032
	ds_load_b128 v[8:11], v228
	s_waitcnt vmcnt(4) lgkmcnt(0)
	v_mul_f64 v[12:13], v[10:11], v[248:249]
	v_mul_f64 v[14:15], v[8:9], v[248:249]
	s_delay_alu instid0(VALU_DEP_2) | instskip(NEXT) | instid1(VALU_DEP_2)
	v_fma_f64 v[8:9], v[8:9], v[246:247], -v[12:13]
	v_fma_f64 v[10:11], v[10:11], v[246:247], v[14:15]
	v_add_co_u32 v12, s0, 0x13000, v244
	s_delay_alu instid0(VALU_DEP_1) | instskip(SKIP_1) | instid1(VALU_DEP_1)
	v_add_co_ci_u32_e64 v13, s0, 0, v245, s0
	v_add_co_u32 v241, s0, 0x14000, v244
	v_add_co_ci_u32_e64 v242, s0, 0, v245, s0
	global_load_b128 v[246:249], v[12:13], off offset:3824
	ds_store_b128 v228, v[8:11]
	ds_load_b128 v[8:11], v224 offset:3888
	ds_load_b128 v[12:15], v224 offset:7776
	s_waitcnt vmcnt(4) lgkmcnt(1)
	v_mul_f64 v[16:17], v[10:11], v[252:253]
	v_mul_f64 v[18:19], v[8:9], v[252:253]
	global_load_b128 v[252:255], v[241:242], off offset:3616
	s_waitcnt vmcnt(4) lgkmcnt(0)
	v_mul_f64 v[241:242], v[14:15], v[231:232]
	v_mul_f64 v[231:232], v[12:13], v[231:232]
	v_fma_f64 v[8:9], v[8:9], v[250:251], -v[16:17]
	v_add_co_u32 v16, s0, 0x15000, v244
	s_delay_alu instid0(VALU_DEP_1)
	v_add_co_ci_u32_e64 v17, s0, 0, v245, s0
	v_fma_f64 v[10:11], v[10:11], v[250:251], v[18:19]
	v_fma_f64 v[12:13], v[12:13], v[229:230], -v[241:242]
	v_fma_f64 v[14:15], v[14:15], v[229:230], v[231:232]
	global_load_b128 v[16:19], v[16:17], off offset:3408
	ds_load_b128 v[229:232], v224 offset:11664
	s_waitcnt vmcnt(4) lgkmcnt(0)
	v_mul_f64 v[241:242], v[231:232], v[235:236]
	v_mul_f64 v[235:236], v[229:230], v[235:236]
	s_delay_alu instid0(VALU_DEP_2) | instskip(NEXT) | instid1(VALU_DEP_2)
	v_fma_f64 v[229:230], v[229:230], v[233:234], -v[241:242]
	v_fma_f64 v[231:232], v[231:232], v[233:234], v[235:236]
	v_add_co_u32 v233, s0, 0x16000, v244
	s_delay_alu instid0(VALU_DEP_1)
	v_add_co_ci_u32_e64 v234, s0, 0, v245, s0
	global_load_b128 v[233:236], v[233:234], off offset:3200
	ds_store_b128 v224, v[8:11] offset:3888
	ds_store_b128 v224, v[12:15] offset:7776
	;; [unrolled: 1-line block ×3, first 2 shown]
	ds_load_b128 v[8:11], v228 offset:15552
	s_waitcnt vmcnt(4) lgkmcnt(0)
	v_mul_f64 v[12:13], v[10:11], v[239:240]
	v_mul_f64 v[14:15], v[8:9], v[239:240]
	s_delay_alu instid0(VALU_DEP_2) | instskip(NEXT) | instid1(VALU_DEP_2)
	v_fma_f64 v[8:9], v[8:9], v[237:238], -v[12:13]
	v_fma_f64 v[10:11], v[10:11], v[237:238], v[14:15]
	v_add_co_u32 v12, s0, 0x17000, v244
	s_delay_alu instid0(VALU_DEP_1) | instskip(SKIP_1) | instid1(VALU_DEP_1)
	v_add_co_ci_u32_e64 v13, s0, 0, v245, s0
	v_add_co_u32 v237, s0, 0x18000, v244
	v_add_co_ci_u32_e64 v238, s0, 0, v245, s0
	global_load_b128 v[12:15], v[12:13], off offset:2992
	ds_store_b128 v228, v[8:11] offset:15552
	ds_load_b128 v[8:11], v224 offset:19440
	ds_load_b128 v[229:232], v224 offset:23328
	global_load_b128 v[237:240], v[237:238], off offset:2784
	s_waitcnt vmcnt(5) lgkmcnt(1)
	v_mul_f64 v[241:242], v[10:11], v[248:249]
	v_mul_f64 v[248:249], v[8:9], v[248:249]
	s_delay_alu instid0(VALU_DEP_2) | instskip(NEXT) | instid1(VALU_DEP_2)
	v_fma_f64 v[8:9], v[8:9], v[246:247], -v[241:242]
	v_fma_f64 v[10:11], v[10:11], v[246:247], v[248:249]
	v_add_co_u32 v246, s0, 0x19000, v244
	s_delay_alu instid0(VALU_DEP_1) | instskip(SKIP_4) | instid1(VALU_DEP_2)
	v_add_co_ci_u32_e64 v247, s0, 0, v245, s0
	global_load_b128 v[246:249], v[246:247], off offset:2576
	s_waitcnt vmcnt(5) lgkmcnt(0)
	v_mul_f64 v[250:251], v[231:232], v[254:255]
	v_mul_f64 v[241:242], v[229:230], v[254:255]
	v_fma_f64 v[229:230], v[229:230], v[252:253], -v[250:251]
	s_delay_alu instid0(VALU_DEP_2) | instskip(SKIP_4) | instid1(VALU_DEP_2)
	v_fma_f64 v[231:232], v[231:232], v[252:253], v[241:242]
	ds_load_b128 v[250:253], v224 offset:27216
	s_waitcnt vmcnt(4) lgkmcnt(0)
	v_mul_f64 v[241:242], v[252:253], v[18:19]
	v_mul_f64 v[18:19], v[250:251], v[18:19]
	v_fma_f64 v[250:251], v[250:251], v[16:17], -v[241:242]
	s_delay_alu instid0(VALU_DEP_2) | instskip(SKIP_1) | instid1(VALU_DEP_1)
	v_fma_f64 v[252:253], v[252:253], v[16:17], v[18:19]
	v_add_co_u32 v16, s0, 0x1a000, v244
	v_add_co_ci_u32_e64 v17, s0, 0, v245, s0
	global_load_b128 v[16:19], v[16:17], off offset:2368
	ds_store_b128 v224, v[8:11] offset:19440
	ds_store_b128 v224, v[229:232] offset:23328
	;; [unrolled: 1-line block ×3, first 2 shown]
	ds_load_b128 v[8:11], v228 offset:31104
	s_waitcnt vmcnt(4) lgkmcnt(0)
	v_mul_f64 v[229:230], v[10:11], v[235:236]
	v_mul_f64 v[231:232], v[8:9], v[235:236]
	s_delay_alu instid0(VALU_DEP_2) | instskip(SKIP_1) | instid1(VALU_DEP_1)
	v_fma_f64 v[8:9], v[8:9], v[233:234], -v[229:230]
	v_add_co_u32 v229, s0, 0x1b000, v244
	v_add_co_ci_u32_e64 v230, s0, 0, v245, s0
	s_delay_alu instid0(VALU_DEP_4) | instskip(SKIP_1) | instid1(VALU_DEP_1)
	v_fma_f64 v[10:11], v[10:11], v[233:234], v[231:232]
	v_add_co_u32 v233, s0, 0x1c000, v244
	v_add_co_ci_u32_e64 v234, s0, 0, v245, s0
	v_add_co_u32 v241, s0, 0x1d000, v244
	s_delay_alu instid0(VALU_DEP_1)
	v_add_co_ci_u32_e64 v242, s0, 0, v245, s0
	s_clause 0x2
	global_load_b128 v[229:232], v[229:230], off offset:2160
	global_load_b128 v[233:236], v[233:234], off offset:1952
	;; [unrolled: 1-line block ×3, first 2 shown]
	ds_store_b128 v228, v[8:11] offset:31104
	ds_load_b128 v[8:11], v224 offset:34992
	ds_load_b128 v[241:244], v224 offset:38880
	s_waitcnt vmcnt(6) lgkmcnt(1)
	v_mul_f64 v[254:255], v[10:11], v[14:15]
	v_mul_f64 v[14:15], v[8:9], v[14:15]
	s_waitcnt vmcnt(5) lgkmcnt(0)
	v_mul_f64 v[226:227], v[241:242], v[239:240]
	s_delay_alu instid0(VALU_DEP_3) | instskip(SKIP_1) | instid1(VALU_DEP_4)
	v_fma_f64 v[8:9], v[8:9], v[12:13], -v[254:255]
	v_mul_f64 v[254:255], v[243:244], v[239:240]
	v_fma_f64 v[10:11], v[10:11], v[12:13], v[14:15]
	ds_load_b128 v[12:15], v224 offset:42768
	v_fma_f64 v[239:240], v[241:242], v[237:238], -v[254:255]
	v_fma_f64 v[241:242], v[243:244], v[237:238], v[226:227]
	s_waitcnt vmcnt(4) lgkmcnt(0)
	v_mul_f64 v[226:227], v[14:15], v[248:249]
	v_mul_f64 v[237:238], v[12:13], v[248:249]
	s_delay_alu instid0(VALU_DEP_2) | instskip(NEXT) | instid1(VALU_DEP_2)
	v_fma_f64 v[12:13], v[12:13], v[246:247], -v[226:227]
	v_fma_f64 v[14:15], v[14:15], v[246:247], v[237:238]
	ds_store_b128 v224, v[8:11] offset:34992
	ds_store_b128 v224, v[239:242] offset:38880
	;; [unrolled: 1-line block ×3, first 2 shown]
	ds_load_b128 v[8:11], v228 offset:46656
	s_waitcnt vmcnt(3) lgkmcnt(0)
	v_mul_f64 v[12:13], v[10:11], v[18:19]
	v_mul_f64 v[14:15], v[8:9], v[18:19]
	s_delay_alu instid0(VALU_DEP_2) | instskip(NEXT) | instid1(VALU_DEP_2)
	v_fma_f64 v[8:9], v[8:9], v[16:17], -v[12:13]
	v_fma_f64 v[10:11], v[10:11], v[16:17], v[14:15]
	ds_store_b128 v228, v[8:11] offset:46656
	ds_load_b128 v[8:11], v224 offset:50544
	ds_load_b128 v[12:15], v224 offset:54432
	;; [unrolled: 1-line block ×3, first 2 shown]
	s_waitcnt vmcnt(2) lgkmcnt(2)
	v_mul_f64 v[226:227], v[10:11], v[231:232]
	v_mul_f64 v[231:232], v[8:9], v[231:232]
	s_waitcnt vmcnt(1) lgkmcnt(1)
	v_mul_f64 v[237:238], v[14:15], v[235:236]
	v_mul_f64 v[235:236], v[12:13], v[235:236]
	;; [unrolled: 3-line block ×3, first 2 shown]
	v_fma_f64 v[8:9], v[8:9], v[229:230], -v[226:227]
	v_fma_f64 v[10:11], v[10:11], v[229:230], v[231:232]
	v_fma_f64 v[12:13], v[12:13], v[233:234], -v[237:238]
	v_fma_f64 v[14:15], v[14:15], v[233:234], v[235:236]
	scratch_load_b128 v[231:234], off, off offset:96 ; 16-byte Folded Reload
	v_fma_f64 v[18:19], v[18:19], v[250:251], v[241:242]
	scratch_load_b128 v[241:244], off, off offset:112 ; 16-byte Folded Reload
	v_fma_f64 v[16:17], v[16:17], v[250:251], -v[239:240]
	v_dual_mov_b32 v240, v4 :: v_dual_mov_b32 v239, v3
	v_dual_mov_b32 v226, v0 :: v_dual_mov_b32 v237, v1
	v_mov_b32_e32 v238, v2
	ds_store_b128 v224, v[8:11] offset:50544
	ds_store_b128 v224, v[12:15] offset:54432
	;; [unrolled: 1-line block ×3, first 2 shown]
.LBB0_9:
	s_or_b32 exec_lo, exec_lo, s1
	s_waitcnt vmcnt(0) lgkmcnt(0)
	s_waitcnt_vscnt null, 0x0
	s_barrier
	buffer_gl0_inv
	s_and_saveexec_b32 s0, vcc_lo
	s_cbranch_execz .LBB0_11
; %bb.10:
	ds_load_b128 v[184:187], v228 offset:3888
	ds_load_b128 v[192:195], v228 offset:7776
	;; [unrolled: 1-line block ×14, first 2 shown]
	ds_load_b128 v[208:211], v228
	ds_load_b128 v[241:244], v228 offset:58320
.LBB0_11:
	s_or_b32 exec_lo, exec_lo, s0
	s_waitcnt lgkmcnt(0)
	s_barrier
	buffer_gl0_inv
	s_and_saveexec_b32 s20, vcc_lo
	s_cbranch_execz .LBB0_13
; %bb.12:
	v_add_f64 v[235:236], v[192:193], -v[220:221]
	v_add_f64 v[222:223], v[194:195], -v[222:223]
	;; [unrolled: 1-line block ×10, first 2 shown]
	v_dual_mov_b32 v212, v225 :: v_dual_mov_b32 v213, v226
	v_add_f64 v[226:227], v[200:201], -v[241:242]
	v_add_f64 v[229:230], v[202:203], -v[243:244]
	;; [unrolled: 1-line block ×6, first 2 shown]
	s_mov_b32 s2, 0x667f3bcd
	s_mov_b32 s3, 0x3fe6a09e
	;; [unrolled: 1-line block ×10, first 2 shown]
	v_mov_b32_e32 v255, v224
	s_mov_b32 s19, 0xbfed906b
	s_mov_b32 s18, s16
	v_fma_f64 v[0:1], v[192:193], 2.0, -v[235:236]
	v_fma_f64 v[194:195], v[194:195], 2.0, -v[222:223]
	;; [unrolled: 1-line block ×16, first 2 shown]
	v_add_f64 v[186:187], v[218:219], -v[226:227]
	v_add_f64 v[190:191], v[229:230], v[216:217]
	v_add_f64 v[226:227], v[22:23], v[220:221]
	;; [unrolled: 1-line block ×3, first 2 shown]
	scratch_store_b64 off, v[0:1], off offset:96 ; 8-byte Folded Spill
	v_add_f64 v[243:244], v[0:1], -v[8:9]
	v_add_f64 v[210:211], v[194:195], -v[10:11]
	v_add_f64 v[239:240], v[196:197], -v[12:13]
	v_add_f64 v[245:246], v[198:199], -v[14:15]
	v_add_f64 v[241:242], v[192:193], -v[176:177]
	v_add_f64 v[247:248], v[237:238], -v[178:179]
	v_add_f64 v[208:209], v[200:201], -v[182:183]
	v_add_f64 v[249:250], v[202:203], -v[180:181]
	v_add_f64 v[180:181], v[18:19], v[235:236]
	v_add_f64 v[182:183], v[214:215], -v[20:21]
	v_add_f64 v[12:13], v[245:246], -v[241:242]
	v_add_f64 v[14:15], v[247:248], v[239:240]
	v_add_f64 v[184:185], v[208:209], -v[243:244]
	v_add_f64 v[188:189], v[249:250], v[210:211]
	s_delay_alu instid0(VALU_DEP_2) | instskip(NEXT) | instid1(VALU_DEP_2)
	v_fma_f64 v[8:9], v[12:13], s[2:3], v[184:185]
	v_fma_f64 v[176:177], v[14:15], s[2:3], v[188:189]
	v_fma_f64 v[251:252], v[208:209], 2.0, -v[184:185]
	v_fma_f64 v[253:254], v[249:250], 2.0, -v[188:189]
	s_delay_alu instid0(VALU_DEP_4) | instskip(NEXT) | instid1(VALU_DEP_4)
	v_fma_f64 v[10:11], v[14:15], s[0:1], v[8:9]
	v_fma_f64 v[8:9], v[12:13], s[2:3], v[176:177]
	v_fma_f64 v[12:13], v[245:246], 2.0, -v[12:13]
	v_fma_f64 v[14:15], v[239:240], 2.0, -v[14:15]
	s_delay_alu instid0(VALU_DEP_2) | instskip(NEXT) | instid1(VALU_DEP_2)
	v_fma_f64 v[176:177], v[12:13], s[0:1], v[251:252]
	v_fma_f64 v[178:179], v[14:15], s[0:1], v[253:254]
	s_delay_alu instid0(VALU_DEP_2) | instskip(NEXT) | instid1(VALU_DEP_2)
	v_fma_f64 v[14:15], v[14:15], s[0:1], v[176:177]
	v_fma_f64 v[12:13], v[12:13], s[2:3], v[178:179]
	v_add_f64 v[176:177], v[206:207], -v[233:234]
	v_add_f64 v[178:179], v[222:223], -v[16:17]
	s_delay_alu instid0(VALU_DEP_1) | instskip(NEXT) | instid1(VALU_DEP_1)
	v_fma_f64 v[16:17], v[178:179], s[2:3], v[176:177]
	v_fma_f64 v[231:232], v[180:181], s[0:1], v[16:17]
	;; [unrolled: 1-line block ×3, first 2 shown]
	s_delay_alu instid0(VALU_DEP_2) | instskip(NEXT) | instid1(VALU_DEP_2)
	v_fma_f64 v[4:5], v[176:177], 2.0, -v[231:232]
	v_fma_f64 v[20:21], v[190:191], s[0:1], v[16:17]
	v_fma_f64 v[16:17], v[190:191], s[2:3], v[226:227]
	s_delay_alu instid0(VALU_DEP_1) | instskip(SKIP_1) | instid1(VALU_DEP_2)
	v_fma_f64 v[22:23], v[186:187], s[2:3], v[16:17]
	v_fma_f64 v[16:17], v[180:181], s[2:3], v[229:230]
	v_fma_f64 v[2:3], v[226:227], 2.0, -v[22:23]
	s_delay_alu instid0(VALU_DEP_2) | instskip(SKIP_1) | instid1(VALU_DEP_2)
	v_fma_f64 v[233:234], v[178:179], s[2:3], v[16:17]
	v_fma_f64 v[16:17], v[20:21], s[16:17], v[231:232]
	;; [unrolled: 1-line block ×3, first 2 shown]
	s_delay_alu instid0(VALU_DEP_2) | instskip(SKIP_1) | instid1(VALU_DEP_3)
	v_fma_f64 v[18:19], v[22:23], s[8:9], v[16:17]
	v_fma_f64 v[6:7], v[229:230], 2.0, -v[233:234]
	v_fma_f64 v[16:17], v[20:21], s[10:11], v[0:1]
	v_fma_f64 v[0:1], v[182:183], 2.0, -v[20:21]
	s_delay_alu instid0(VALU_DEP_3) | instskip(NEXT) | instid1(VALU_DEP_2)
	v_fma_f64 v[224:225], v[2:3], s[8:9], v[6:7]
	v_fma_f64 v[20:21], v[0:1], s[8:9], v[4:5]
	s_delay_alu instid0(VALU_DEP_1) | instskip(NEXT) | instid1(VALU_DEP_3)
	v_fma_f64 v[22:23], v[2:3], s[18:19], v[20:21]
	v_fma_f64 v[20:21], v[0:1], s[16:17], v[224:225]
	v_fma_f64 v[0:1], v[214:215], 2.0, -v[182:183]
	v_fma_f64 v[2:3], v[218:219], 2.0, -v[186:187]
	v_fma_f64 v[182:183], v[206:207], 2.0, -v[176:177]
	v_fma_f64 v[176:177], v[222:223], 2.0, -v[178:179]
	v_fma_f64 v[178:179], v[235:236], 2.0, -v[180:181]
	v_fma_f64 v[180:181], v[216:217], 2.0, -v[190:191]
	v_fma_f64 v[186:187], v[220:221], 2.0, -v[226:227]
	v_mov_b32_e32 v226, v213
	v_fma_f64 v[190:191], v[204:205], 2.0, -v[229:230]
	v_dual_mov_b32 v224, v255 :: v_dual_mov_b32 v225, v212
	v_fma_f64 v[204:205], v[2:3], s[0:1], v[0:1]
	s_delay_alu instid0(VALU_DEP_1) | instskip(SKIP_1) | instid1(VALU_DEP_2)
	v_fma_f64 v[204:205], v[180:181], s[0:1], v[204:205]
	v_fma_f64 v[180:181], v[180:181], s[0:1], v[186:187]
	v_fma_f64 v[0:1], v[0:1], 2.0, -v[204:205]
	s_delay_alu instid0(VALU_DEP_2) | instskip(SKIP_1) | instid1(VALU_DEP_1)
	v_fma_f64 v[2:3], v[2:3], s[2:3], v[180:181]
	v_fma_f64 v[180:181], v[178:179], s[0:1], v[190:191]
	;; [unrolled: 1-line block ×4, first 2 shown]
	s_delay_alu instid0(VALU_DEP_2) | instskip(NEXT) | instid1(VALU_DEP_2)
	v_fma_f64 v[214:215], v[190:191], 2.0, -v[206:207]
	v_fma_f64 v[212:213], v[178:179], s[0:1], v[176:177]
	v_fma_f64 v[176:177], v[2:3], s[10:11], v[206:207]
	v_fma_f64 v[190:191], v[231:232], 2.0, -v[18:19]
	s_delay_alu instid0(VALU_DEP_3) | instskip(NEXT) | instid1(VALU_DEP_3)
	v_fma_f64 v[178:179], v[204:205], s[10:11], v[212:213]
	v_fma_f64 v[176:177], v[204:205], s[16:17], v[176:177]
	v_fma_f64 v[204:205], v[182:183], 2.0, -v[212:213]
	s_delay_alu instid0(VALU_DEP_3) | instskip(SKIP_1) | instid1(VALU_DEP_3)
	v_fma_f64 v[178:179], v[2:3], s[18:19], v[178:179]
	v_fma_f64 v[2:3], v[186:187], 2.0, -v[2:3]
	v_fma_f64 v[180:181], v[0:1], s[18:19], v[204:205]
	s_delay_alu instid0(VALU_DEP_2) | instskip(NEXT) | instid1(VALU_DEP_2)
	v_fma_f64 v[186:187], v[2:3], s[18:19], v[214:215]
	v_fma_f64 v[182:183], v[2:3], s[8:9], v[180:181]
	v_fma_f64 v[2:3], v[194:195], 2.0, -v[210:211]
	v_fma_f64 v[194:195], v[202:203], 2.0, -v[249:250]
	s_delay_alu instid0(VALU_DEP_4)
	v_fma_f64 v[180:181], v[0:1], s[10:11], v[186:187]
	scratch_load_b32 v0, off, off offset:92 ; 4-byte Folded Reload
	v_fma_f64 v[186:187], v[184:185], 2.0, -v[10:11]
	v_fma_f64 v[184:185], v[188:189], 2.0, -v[8:9]
	;; [unrolled: 1-line block ×3, first 2 shown]
	s_waitcnt vmcnt(0)
	v_and_b32_e32 v0, 0xffff, v0
	s_delay_alu instid0(VALU_DEP_1)
	v_lshlrev_b32_e32 v216, 4, v0
	ds_store_b128 v216, v[184:187] offset:96
	ds_store_b128 v216, v[188:191] offset:112
	v_fma_f64 v[184:185], v[253:254], 2.0, -v[12:13]
	ds_store_b128 v216, v[12:15] offset:160
	ds_store_b128 v216, v[20:23] offset:176
	v_fma_f64 v[12:13], v[6:7], 2.0, -v[20:21]
	scratch_load_b64 v[20:21], off, off offset:96 ; 8-byte Folded Reload
	v_fma_f64 v[186:187], v[251:252], 2.0, -v[14:15]
	v_fma_f64 v[14:15], v[4:5], 2.0, -v[22:23]
	;; [unrolled: 1-line block ×7, first 2 shown]
	ds_store_b128 v216, v[176:179] offset:208
	v_add_f64 v[2:3], v[0:1], -v[2:3]
	v_add_f64 v[6:7], v[4:5], -v[6:7]
	;; [unrolled: 1-line block ×3, first 2 shown]
	s_delay_alu instid0(VALU_DEP_3) | instskip(NEXT) | instid1(VALU_DEP_3)
	v_fma_f64 v[0:1], v[0:1], 2.0, -v[2:3]
	v_add_f64 v[22:23], v[2:3], -v[6:7]
	v_fma_f64 v[4:5], v[4:5], 2.0, -v[6:7]
	s_delay_alu instid0(VALU_DEP_2) | instskip(SKIP_3) | instid1(VALU_DEP_1)
	v_fma_f64 v[190:191], v[2:3], 2.0, -v[22:23]
	v_fma_f64 v[2:3], v[192:193], 2.0, -v[198:199]
	s_waitcnt vmcnt(0)
	v_fma_f64 v[20:21], v[20:21], 2.0, -v[243:244]
	v_add_f64 v[196:197], v[194:195], -v[20:21]
	s_delay_alu instid0(VALU_DEP_1) | instskip(SKIP_2) | instid1(VALU_DEP_3)
	v_add_f64 v[20:21], v[196:197], v[198:199]
	v_fma_f64 v[192:193], v[194:195], 2.0, -v[196:197]
	v_fma_f64 v[198:199], v[204:205], 2.0, -v[182:183]
	v_fma_f64 v[188:189], v[196:197], 2.0, -v[20:21]
	ds_store_b128 v216, v[20:23] offset:192
	v_fma_f64 v[22:23], v[212:213], 2.0, -v[178:179]
	v_fma_f64 v[20:21], v[206:207], 2.0, -v[176:177]
	v_add_f64 v[178:179], v[0:1], -v[2:3]
	v_add_f64 v[176:177], v[192:193], -v[4:5]
	v_fma_f64 v[196:197], v[214:215], 2.0, -v[180:181]
	s_delay_alu instid0(VALU_DEP_3) | instskip(NEXT) | instid1(VALU_DEP_3)
	v_fma_f64 v[194:195], v[0:1], 2.0, -v[178:179]
	v_fma_f64 v[192:193], v[192:193], 2.0, -v[176:177]
	ds_store_b128 v216, v[184:187] offset:32
	ds_store_b128 v216, v[12:15] offset:48
	;; [unrolled: 1-line block ×6, first 2 shown]
	ds_store_b128 v216, v[192:195]
	ds_store_b128 v216, v[196:199] offset:16
	ds_store_b128 v216, v[8:11] offset:224
	;; [unrolled: 1-line block ×3, first 2 shown]
.LBB0_13:
	s_or_b32 exec_lo, exec_lo, s20
	s_waitcnt lgkmcnt(0)
	s_waitcnt_vscnt null, 0x0
	s_barrier
	buffer_gl0_inv
	ds_load_b128 v[8:11], v228 offset:20736
	ds_load_b128 v[12:15], v228 offset:41472
	;; [unrolled: 1-line block ×9, first 2 shown]
	scratch_load_b128 v[210:213], off, off offset:16 ; 16-byte Folded Reload
	s_mov_b32 s0, 0xe8584caa
	s_mov_b32 s1, 0xbfebb67a
	;; [unrolled: 1-line block ×4, first 2 shown]
	s_waitcnt lgkmcnt(6)
	v_mul_f64 v[196:197], v[142:143], v[18:19]
	v_mul_f64 v[142:143], v[142:143], v[16:17]
	s_waitcnt lgkmcnt(5)
	v_mul_f64 v[198:199], v[138:139], v[22:23]
	v_mul_f64 v[138:139], v[138:139], v[20:21]
	s_waitcnt lgkmcnt(4)
	v_mul_f64 v[200:201], v[158:159], v[178:179]
	s_waitcnt lgkmcnt(3)
	v_mul_f64 v[202:203], v[154:155], v[182:183]
	v_mul_f64 v[158:159], v[158:159], v[176:177]
	;; [unrolled: 1-line block ×3, first 2 shown]
	s_waitcnt lgkmcnt(2)
	v_mul_f64 v[204:205], v[174:175], v[186:187]
	s_waitcnt lgkmcnt(1)
	v_mul_f64 v[206:207], v[170:171], v[190:191]
	v_mul_f64 v[174:175], v[174:175], v[184:185]
	v_mul_f64 v[170:171], v[170:171], v[188:189]
	v_fma_f64 v[16:17], v[140:141], v[16:17], v[196:197]
	v_fma_f64 v[18:19], v[140:141], v[18:19], -v[142:143]
	v_fma_f64 v[20:21], v[136:137], v[20:21], v[198:199]
	v_fma_f64 v[22:23], v[136:137], v[22:23], -v[138:139]
	v_fma_f64 v[136:137], v[156:157], v[176:177], v[200:201]
	v_fma_f64 v[140:141], v[152:153], v[180:181], v[202:203]
	v_fma_f64 v[138:139], v[156:157], v[178:179], -v[158:159]
	v_fma_f64 v[142:143], v[152:153], v[182:183], -v[154:155]
	v_fma_f64 v[152:153], v[172:173], v[184:185], v[204:205]
	v_fma_f64 v[154:155], v[168:169], v[188:189], v[206:207]
	v_fma_f64 v[156:157], v[172:173], v[186:187], -v[174:175]
	v_fma_f64 v[158:159], v[168:169], v[190:191], -v[170:171]
	v_add_f64 v[172:173], v[16:17], v[20:21]
	v_add_f64 v[174:175], v[18:19], v[22:23]
	;; [unrolled: 1-line block ×4, first 2 shown]
	s_waitcnt lgkmcnt(0)
	v_add_f64 v[202:203], v[192:193], v[152:153]
	v_add_f64 v[180:181], v[152:153], v[154:155]
	;; [unrolled: 1-line block ×4, first 2 shown]
	v_add_f64 v[216:217], v[156:157], -v[158:159]
	s_delay_alu instid0(VALU_DEP_4) | instskip(SKIP_1) | instid1(VALU_DEP_4)
	v_fma_f64 v[180:181], v[180:181], -0.5, v[192:193]
	v_add_f64 v[192:193], v[152:153], -v[154:155]
	v_fma_f64 v[182:183], v[182:183], -0.5, v[194:195]
	s_waitcnt vmcnt(0)
	v_mul_f64 v[0:1], v[212:213], v[10:11]
	v_mul_f64 v[2:3], v[212:213], v[8:9]
	scratch_load_b128 v[212:215], off, off  ; 16-byte Folded Reload
	v_fma_f64 v[208:209], v[210:211], v[8:9], v[0:1]
	v_fma_f64 v[210:211], v[210:211], v[10:11], -v[2:3]
	ds_load_b128 v[0:3], v228
	s_waitcnt lgkmcnt(0)
	v_add_f64 v[184:185], v[0:1], v[208:209]
	v_add_f64 v[188:189], v[2:3], v[210:211]
	s_waitcnt vmcnt(0)
	v_mul_f64 v[4:5], v[214:215], v[14:15]
	v_mul_f64 v[6:7], v[214:215], v[12:13]
	v_add_f64 v[214:215], v[136:137], -v[140:141]
	s_delay_alu instid0(VALU_DEP_3) | instskip(NEXT) | instid1(VALU_DEP_3)
	v_fma_f64 v[12:13], v[212:213], v[12:13], v[4:5]
	v_fma_f64 v[14:15], v[212:213], v[14:15], -v[6:7]
	ds_load_b128 v[4:7], v228 offset:5184
	ds_load_b128 v[8:11], v228 offset:10368
	v_add_f64 v[212:213], v[138:139], -v[142:143]
	s_waitcnt lgkmcnt(0)
	s_barrier
	buffer_gl0_inv
	v_add_f64 v[190:191], v[4:5], v[16:17]
	v_fma_f64 v[176:177], v[176:177], -0.5, v[8:9]
	v_add_f64 v[196:197], v[6:7], v[18:19]
	v_fma_f64 v[172:173], v[172:173], -0.5, v[4:5]
	v_fma_f64 v[174:175], v[174:175], -0.5, v[6:7]
	v_add_f64 v[198:199], v[8:9], v[136:137]
	v_add_f64 v[200:201], v[10:11], v[138:139]
	v_fma_f64 v[178:179], v[178:179], -0.5, v[10:11]
	v_add_f64 v[168:169], v[208:209], v[12:13]
	v_add_f64 v[170:171], v[210:211], v[14:15]
	v_add_f64 v[186:187], v[210:211], -v[14:15]
	v_add_f64 v[206:207], v[208:209], -v[12:13]
	;; [unrolled: 1-line block ×4, first 2 shown]
	v_add_f64 v[4:5], v[190:191], v[20:21]
	v_fma_f64 v[152:153], v[212:213], s[0:1], v[176:177]
	v_fma_f64 v[156:157], v[212:213], s[2:3], v[176:177]
	scratch_load_b32 v176, off, off offset:88 ; 4-byte Folded Reload
	v_add_f64 v[6:7], v[196:197], v[22:23]
	v_add_f64 v[8:9], v[198:199], v[140:141]
	;; [unrolled: 1-line block ×3, first 2 shown]
	v_fma_f64 v[168:169], v[168:169], -0.5, v[0:1]
	v_fma_f64 v[170:171], v[170:171], -0.5, v[2:3]
	v_add_f64 v[0:1], v[184:185], v[12:13]
	v_add_f64 v[2:3], v[188:189], v[14:15]
	v_fma_f64 v[136:137], v[208:209], s[0:1], v[172:173]
	v_fma_f64 v[138:139], v[210:211], s[2:3], v[174:175]
	;; [unrolled: 1-line block ×4, first 2 shown]
	v_add_f64 v[12:13], v[202:203], v[154:155]
	v_fma_f64 v[154:155], v[214:215], s[2:3], v[178:179]
	v_add_f64 v[14:15], v[204:205], v[158:159]
	v_fma_f64 v[158:159], v[214:215], s[0:1], v[178:179]
	v_fma_f64 v[172:173], v[216:217], s[2:3], v[180:181]
	;; [unrolled: 1-line block ×9, first 2 shown]
	s_waitcnt vmcnt(0)
	ds_store_b128 v176, v[0:3]
	ds_store_b128 v176, v[16:19] offset:256
	ds_store_b128 v176, v[20:23] offset:512
	scratch_load_b32 v0, off, off offset:84 ; 4-byte Folded Reload
	s_waitcnt vmcnt(0)
	ds_store_b128 v0, v[4:7]
	ds_store_b128 v0, v[136:139] offset:256
	ds_store_b128 v0, v[140:143] offset:512
	scratch_load_b32 v0, off, off offset:80 ; 4-byte Folded Reload
	;; [unrolled: 5-line block ×3, first 2 shown]
	s_waitcnt vmcnt(0)
	ds_store_b128 v0, v[12:15]
	ds_store_b128 v0, v[168:171] offset:256
	ds_store_b128 v0, v[172:175] offset:512
	s_waitcnt lgkmcnt(0)
	s_barrier
	buffer_gl0_inv
	ds_load_b128 v[0:3], v228 offset:20736
	ds_load_b128 v[4:7], v228 offset:41472
	;; [unrolled: 1-line block ×9, first 2 shown]
	s_waitcnt lgkmcnt(8)
	v_mul_f64 v[156:157], v[102:103], v[2:3]
	v_mul_f64 v[102:103], v[102:103], v[0:1]
	s_waitcnt lgkmcnt(7)
	v_mul_f64 v[158:159], v[98:99], v[6:7]
	v_mul_f64 v[98:99], v[98:99], v[4:5]
	;; [unrolled: 3-line block ×6, first 2 shown]
	v_mul_f64 v[176:177], v[126:127], v[138:139]
	v_mul_f64 v[126:127], v[126:127], v[136:137]
	;; [unrolled: 1-line block ×4, first 2 shown]
	v_fma_f64 v[156:157], v[100:101], v[0:1], v[156:157]
	v_fma_f64 v[100:101], v[100:101], v[2:3], -v[102:103]
	v_fma_f64 v[102:103], v[96:97], v[4:5], v[158:159]
	v_fma_f64 v[96:97], v[96:97], v[6:7], -v[98:99]
	;; [unrolled: 2-line block ×6, first 2 shown]
	ds_load_b128 v[0:3], v228
	ds_load_b128 v[4:7], v228 offset:5184
	ds_load_b128 v[8:11], v228 offset:10368
	v_fma_f64 v[104:105], v[124:125], v[136:137], v[176:177]
	v_fma_f64 v[110:111], v[124:125], v[138:139], -v[126:127]
	v_fma_f64 v[18:19], v[116:117], v[18:19], -v[118:119]
	s_waitcnt lgkmcnt(0)
	s_barrier
	buffer_gl0_inv
	v_fma_f64 v[16:17], v[116:117], v[16:17], v[172:173]
	v_add_f64 v[138:139], v[0:1], v[156:157]
	v_add_f64 v[114:115], v[156:157], v[102:103]
	v_add_f64 v[156:157], v[156:157], -v[102:103]
	v_add_f64 v[142:143], v[4:5], v[98:99]
	v_add_f64 v[116:117], v[100:101], v[96:97]
	v_add_f64 v[176:177], v[98:99], -v[12:13]
	;; [unrolled: 3-line block ×4, first 2 shown]
	v_add_f64 v[126:127], v[104:105], v[106:107]
	v_add_f64 v[172:173], v[152:153], v[104:105]
	;; [unrolled: 1-line block ×4, first 2 shown]
	v_add_f64 v[178:179], v[18:19], -v[22:23]
	v_add_f64 v[136:137], v[110:111], v[112:113]
	v_add_f64 v[122:123], v[16:17], v[20:21]
	;; [unrolled: 1-line block ×3, first 2 shown]
	v_add_f64 v[180:181], v[16:17], -v[20:21]
	v_add_f64 v[174:175], v[154:155], v[110:111]
	v_add_f64 v[182:183], v[110:111], -v[112:113]
	v_fma_f64 v[114:115], v[114:115], -0.5, v[0:1]
	v_add_f64 v[0:1], v[138:139], v[102:103]
	v_fma_f64 v[116:117], v[116:117], -0.5, v[2:3]
	v_fma_f64 v[120:121], v[120:121], -0.5, v[6:7]
	;; [unrolled: 1-line block ×3, first 2 shown]
	v_add_f64 v[4:5], v[142:143], v[12:13]
	v_add_f64 v[2:3], v[100:101], v[96:97]
	;; [unrolled: 1-line block ×3, first 2 shown]
	v_fma_f64 v[126:127], v[126:127], -0.5, v[152:153]
	v_add_f64 v[152:153], v[104:105], -v[106:107]
	v_fma_f64 v[124:125], v[124:125], -0.5, v[10:11]
	v_add_f64 v[10:11], v[170:171], v[22:23]
	v_add_f64 v[12:13], v[172:173], v[106:107]
	v_fma_f64 v[136:137], v[136:137], -0.5, v[154:155]
	v_fma_f64 v[122:123], v[122:123], -0.5, v[8:9]
	v_add_f64 v[8:9], v[168:169], v[20:21]
	v_add_f64 v[14:15], v[174:175], v[112:113]
	v_fma_f64 v[16:17], v[140:141], s[0:1], v[114:115]
	v_fma_f64 v[20:21], v[140:141], s[2:3], v[114:115]
	;; [unrolled: 1-line block ×6, first 2 shown]
	scratch_load_b32 v120, off, off offset:60 ; 4-byte Folded Reload
	v_fma_f64 v[96:97], v[108:109], s[0:1], v[118:119]
	v_fma_f64 v[100:101], v[108:109], s[2:3], v[118:119]
	s_waitcnt vmcnt(0)
	ds_store_b128 v120, v[0:3]
	ds_store_b128 v120, v[16:19] offset:768
	ds_store_b128 v120, v[20:23] offset:1536
	scratch_load_b32 v0, off, off offset:56 ; 4-byte Folded Reload
	v_fma_f64 v[104:105], v[178:179], s[0:1], v[122:123]
	v_fma_f64 v[106:107], v[180:181], s[2:3], v[124:125]
	;; [unrolled: 1-line block ×8, first 2 shown]
	s_waitcnt vmcnt(0)
	ds_store_b128 v0, v[4:7]
	ds_store_b128 v0, v[96:99] offset:768
	ds_store_b128 v0, v[100:103] offset:1536
	scratch_load_b32 v0, off, off offset:52 ; 4-byte Folded Reload
	s_waitcnt vmcnt(0)
	ds_store_b128 v0, v[8:11]
	ds_store_b128 v0, v[104:107] offset:768
	ds_store_b128 v0, v[108:111] offset:1536
	scratch_load_b32 v0, off, off offset:48 ; 4-byte Folded Reload
	s_waitcnt vmcnt(0)
	ds_store_b128 v0, v[12:15]
	ds_store_b128 v0, v[112:115] offset:768
	ds_store_b128 v0, v[116:119] offset:1536
	s_waitcnt lgkmcnt(0)
	s_barrier
	buffer_gl0_inv
	ds_load_b128 v[0:3], v228 offset:20736
	ds_load_b128 v[4:7], v228 offset:41472
	;; [unrolled: 1-line block ×9, first 2 shown]
	s_waitcnt lgkmcnt(8)
	v_mul_f64 v[108:109], v[38:39], v[2:3]
	v_mul_f64 v[38:39], v[38:39], v[0:1]
	s_waitcnt lgkmcnt(7)
	v_mul_f64 v[110:111], v[34:35], v[6:7]
	v_mul_f64 v[34:35], v[34:35], v[4:5]
	;; [unrolled: 3-line block ×6, first 2 shown]
	v_mul_f64 v[120:121], v[62:63], v[98:99]
	v_mul_f64 v[62:63], v[62:63], v[96:97]
	;; [unrolled: 1-line block ×4, first 2 shown]
	v_fma_f64 v[108:109], v[36:37], v[0:1], v[108:109]
	v_fma_f64 v[36:37], v[36:37], v[2:3], -v[38:39]
	v_fma_f64 v[38:39], v[32:33], v[4:5], v[110:111]
	v_fma_f64 v[32:33], v[32:33], v[6:7], -v[34:35]
	;; [unrolled: 2-line block ×6, first 2 shown]
	ds_load_b128 v[0:3], v228
	ds_load_b128 v[4:7], v228 offset:5184
	ds_load_b128 v[8:11], v228 offset:10368
	v_fma_f64 v[40:41], v[60:61], v[96:97], v[120:121]
	v_fma_f64 v[46:47], v[60:61], v[98:99], -v[62:63]
	v_fma_f64 v[18:19], v[52:53], v[18:19], -v[54:55]
	s_waitcnt lgkmcnt(0)
	s_barrier
	buffer_gl0_inv
	v_fma_f64 v[16:17], v[52:53], v[16:17], v[116:117]
	v_add_f64 v[98:99], v[0:1], v[108:109]
	v_add_f64 v[50:51], v[108:109], v[38:39]
	v_add_f64 v[108:109], v[108:109], -v[38:39]
	v_add_f64 v[102:103], v[4:5], v[34:35]
	v_add_f64 v[52:53], v[36:37], v[32:33]
	v_add_f64 v[120:121], v[34:35], -v[12:13]
	;; [unrolled: 3-line block ×4, first 2 shown]
	v_add_f64 v[62:63], v[40:41], v[42:43]
	v_add_f64 v[116:117], v[104:105], v[40:41]
	;; [unrolled: 1-line block ×4, first 2 shown]
	v_add_f64 v[122:123], v[18:19], -v[22:23]
	v_add_f64 v[96:97], v[46:47], v[48:49]
	v_add_f64 v[58:59], v[16:17], v[20:21]
	;; [unrolled: 1-line block ×3, first 2 shown]
	v_add_f64 v[124:125], v[16:17], -v[20:21]
	v_add_f64 v[118:119], v[106:107], v[46:47]
	v_add_f64 v[126:127], v[46:47], -v[48:49]
	v_fma_f64 v[50:51], v[50:51], -0.5, v[0:1]
	v_add_f64 v[0:1], v[98:99], v[38:39]
	v_fma_f64 v[52:53], v[52:53], -0.5, v[2:3]
	v_fma_f64 v[56:57], v[56:57], -0.5, v[6:7]
	;; [unrolled: 1-line block ×3, first 2 shown]
	v_add_f64 v[4:5], v[102:103], v[12:13]
	v_add_f64 v[2:3], v[36:37], v[32:33]
	;; [unrolled: 1-line block ×3, first 2 shown]
	v_fma_f64 v[62:63], v[62:63], -0.5, v[104:105]
	v_add_f64 v[104:105], v[40:41], -v[42:43]
	v_fma_f64 v[60:61], v[60:61], -0.5, v[10:11]
	v_add_f64 v[10:11], v[114:115], v[22:23]
	v_add_f64 v[12:13], v[116:117], v[42:43]
	v_fma_f64 v[96:97], v[96:97], -0.5, v[106:107]
	v_fma_f64 v[58:59], v[58:59], -0.5, v[8:9]
	v_add_f64 v[8:9], v[112:113], v[20:21]
	v_add_f64 v[14:15], v[118:119], v[48:49]
	v_fma_f64 v[16:17], v[100:101], s[0:1], v[50:51]
	v_fma_f64 v[20:21], v[100:101], s[2:3], v[50:51]
	;; [unrolled: 1-line block ×6, first 2 shown]
	scratch_load_b32 v56, off, off offset:44 ; 4-byte Folded Reload
	v_fma_f64 v[32:33], v[44:45], s[0:1], v[54:55]
	v_fma_f64 v[36:37], v[44:45], s[2:3], v[54:55]
	s_waitcnt vmcnt(0)
	ds_store_b128 v56, v[0:3]
	ds_store_b128 v56, v[16:19] offset:2304
	ds_store_b128 v56, v[20:23] offset:4608
	scratch_load_b32 v0, off, off offset:40 ; 4-byte Folded Reload
	v_fma_f64 v[40:41], v[122:123], s[0:1], v[58:59]
	v_fma_f64 v[42:43], v[124:125], s[2:3], v[60:61]
	;; [unrolled: 1-line block ×8, first 2 shown]
	s_waitcnt vmcnt(0)
	ds_store_b128 v0, v[4:7]
	ds_store_b128 v0, v[32:35] offset:2304
	ds_store_b128 v0, v[36:39] offset:4608
	scratch_load_b32 v0, off, off offset:36 ; 4-byte Folded Reload
	s_waitcnt vmcnt(0)
	ds_store_b128 v0, v[8:11]
	ds_store_b128 v0, v[40:43] offset:2304
	ds_store_b128 v0, v[44:47] offset:4608
	scratch_load_b32 v0, off, off offset:32 ; 4-byte Folded Reload
	s_waitcnt vmcnt(0)
	ds_store_b128 v0, v[12:15]
	ds_store_b128 v0, v[48:51] offset:2304
	ds_store_b128 v0, v[52:55] offset:4608
	s_waitcnt lgkmcnt(0)
	s_barrier
	buffer_gl0_inv
	ds_load_b128 v[0:3], v228 offset:20736
	ds_load_b128 v[4:7], v228 offset:41472
	;; [unrolled: 1-line block ×9, first 2 shown]
	s_waitcnt lgkmcnt(8)
	v_mul_f64 v[44:45], v[30:31], v[2:3]
	v_mul_f64 v[30:31], v[30:31], v[0:1]
	s_waitcnt lgkmcnt(7)
	v_mul_f64 v[46:47], v[26:27], v[6:7]
	v_mul_f64 v[26:27], v[26:27], v[4:5]
	;; [unrolled: 3-line block ×5, first 2 shown]
	v_mul_f64 v[52:53], v[66:67], v[14:15]
	v_mul_f64 v[54:55], v[66:67], v[12:13]
	s_waitcnt lgkmcnt(2)
	v_mul_f64 v[66:67], v[86:87], v[34:35]
	v_mul_f64 v[78:79], v[86:87], v[32:33]
	s_waitcnt lgkmcnt(1)
	v_mul_f64 v[70:71], v[90:91], v[38:39]
	v_mul_f64 v[82:83], v[90:91], v[36:37]
	v_fma_f64 v[44:45], v[28:29], v[0:1], v[44:45]
	v_fma_f64 v[28:29], v[28:29], v[2:3], -v[30:31]
	v_fma_f64 v[30:31], v[24:25], v[4:5], v[46:47]
	v_fma_f64 v[24:25], v[24:25], v[6:7], -v[26:27]
	;; [unrolled: 2-line block ×5, first 2 shown]
	ds_load_b128 v[0:3], v228
	ds_load_b128 v[4:7], v228 offset:5184
	ds_load_b128 v[8:11], v228 offset:10368
	v_fma_f64 v[12:13], v[64:65], v[12:13], v[52:53]
	v_fma_f64 v[14:15], v[64:65], v[14:15], -v[54:55]
	v_fma_f64 v[32:33], v[84:85], v[32:33], v[66:67]
	v_fma_f64 v[34:35], v[84:85], v[34:35], -v[78:79]
	;; [unrolled: 2-line block ×3, first 2 shown]
	s_waitcnt lgkmcnt(0)
	s_barrier
	buffer_gl0_inv
	v_add_f64 v[64:65], v[0:1], v[44:45]
	v_add_f64 v[48:49], v[44:45], v[30:31]
	;; [unrolled: 1-line block ×3, first 2 shown]
	v_add_f64 v[66:67], v[28:29], -v[24:25]
	v_add_f64 v[28:29], v[2:3], v[28:29]
	v_add_f64 v[44:45], v[44:45], -v[30:31]
	v_add_f64 v[76:77], v[8:9], v[16:17]
	v_add_f64 v[56:57], v[16:17], v[20:21]
	v_add_f64 v[58:59], v[18:19], v[22:23]
	v_add_f64 v[78:79], v[10:11], v[18:19]
	v_add_f64 v[86:87], v[18:19], -v[22:23]
	v_add_f64 v[88:89], v[16:17], -v[20:21]
	v_add_f64 v[52:53], v[26:27], v[12:13]
	v_add_f64 v[54:55], v[46:47], v[14:15]
	v_add_f64 v[68:69], v[4:5], v[26:27]
	v_add_f64 v[70:71], v[6:7], v[46:47]
	v_add_f64 v[46:47], v[46:47], -v[14:15]
	;; [unrolled: 6-line block ×3, first 2 shown]
	v_add_f64 v[96:97], v[32:33], -v[36:37]
	v_fma_f64 v[48:49], v[48:49], -0.5, v[0:1]
	v_fma_f64 v[50:51], v[50:51], -0.5, v[2:3]
	v_add_f64 v[0:1], v[64:65], v[30:31]
	v_add_f64 v[2:3], v[28:29], v[24:25]
	v_fma_f64 v[56:57], v[56:57], -0.5, v[8:9]
	v_fma_f64 v[58:59], v[58:59], -0.5, v[10:11]
	v_add_f64 v[8:9], v[76:77], v[20:21]
	v_add_f64 v[10:11], v[78:79], v[22:23]
	;; [unrolled: 4-line block ×3, first 2 shown]
	v_add_f64 v[12:13], v[80:81], v[36:37]
	v_add_f64 v[14:15], v[82:83], v[38:39]
	v_fma_f64 v[60:61], v[60:61], -0.5, v[40:41]
	v_fma_f64 v[62:63], v[62:63], -0.5, v[42:43]
	v_fma_f64 v[16:17], v[66:67], s[0:1], v[48:49]
	v_fma_f64 v[18:19], v[44:45], s[2:3], v[50:51]
	;; [unrolled: 1-line block ×4, first 2 shown]
	ds_store_b128 v228, v[0:3]
	ds_store_b128 v228, v[16:19] offset:6912
	ds_store_b128 v228, v[20:23] offset:13824
	scratch_load_b32 v0, off, off offset:72 ; 4-byte Folded Reload
	v_fma_f64 v[24:25], v[46:47], s[0:1], v[52:53]
	v_fma_f64 v[26:27], v[84:85], s[2:3], v[54:55]
	;; [unrolled: 1-line block ×12, first 2 shown]
	s_waitcnt vmcnt(0)
	ds_store_b128 v0, v[4:7]
	ds_store_b128 v0, v[24:27] offset:6912
	ds_store_b128 v0, v[28:31] offset:13824
	scratch_load_b32 v0, off, off offset:68 ; 4-byte Folded Reload
	s_waitcnt vmcnt(0)
	ds_store_b128 v0, v[8:11]
	ds_store_b128 v0, v[32:35] offset:6912
	ds_store_b128 v0, v[36:39] offset:13824
	scratch_load_b32 v0, off, off offset:64 ; 4-byte Folded Reload
	s_waitcnt vmcnt(0)
	ds_store_b128 v0, v[12:15] offset:41472
	ds_store_b128 v0, v[40:43] offset:48384
	ds_store_b128 v0, v[44:47] offset:55296
	s_waitcnt lgkmcnt(0)
	s_barrier
	buffer_gl0_inv
	ds_load_b128 v[0:3], v228 offset:20736
	ds_load_b128 v[4:7], v228 offset:41472
	;; [unrolled: 1-line block ×9, first 2 shown]
	s_waitcnt lgkmcnt(8)
	v_mul_f64 v[36:37], v[130:131], v[2:3]
	s_waitcnt lgkmcnt(7)
	v_mul_f64 v[38:39], v[134:135], v[6:7]
	;; [unrolled: 2-line block ×3, first 2 shown]
	v_mul_f64 v[42:43], v[74:75], v[8:9]
	s_waitcnt lgkmcnt(5)
	v_mul_f64 v[44:45], v[94:95], v[14:15]
	v_mul_f64 v[46:47], v[94:95], v[12:13]
	s_waitcnt lgkmcnt(4)
	v_mul_f64 v[48:49], v[150:151], v[18:19]
	;; [unrolled: 3-line block ×3, first 2 shown]
	v_mul_f64 v[54:55], v[146:147], v[20:21]
	v_mul_f64 v[56:57], v[130:131], v[0:1]
	;; [unrolled: 1-line block ×3, first 2 shown]
	s_waitcnt lgkmcnt(2)
	v_mul_f64 v[60:61], v[166:167], v[26:27]
	v_mul_f64 v[62:63], v[166:167], v[24:25]
	s_waitcnt lgkmcnt(1)
	v_mul_f64 v[64:65], v[162:163], v[30:31]
	v_mul_f64 v[66:67], v[162:163], v[28:29]
	v_fma_f64 v[36:37], v[128:129], v[0:1], v[36:37]
	v_fma_f64 v[38:39], v[132:133], v[4:5], v[38:39]
	;; [unrolled: 1-line block ×3, first 2 shown]
	v_fma_f64 v[42:43], v[72:73], v[10:11], -v[42:43]
	v_fma_f64 v[12:13], v[92:93], v[12:13], v[44:45]
	v_fma_f64 v[14:15], v[92:93], v[14:15], -v[46:47]
	v_fma_f64 v[16:17], v[148:149], v[16:17], v[48:49]
	;; [unrolled: 2-line block ×3, first 2 shown]
	v_fma_f64 v[22:23], v[144:145], v[22:23], -v[54:55]
	v_fma_f64 v[44:45], v[128:129], v[2:3], -v[56:57]
	;; [unrolled: 1-line block ×3, first 2 shown]
	v_fma_f64 v[24:25], v[164:165], v[24:25], v[60:61]
	v_fma_f64 v[26:27], v[164:165], v[26:27], -v[62:63]
	v_fma_f64 v[28:29], v[160:161], v[28:29], v[64:65]
	v_fma_f64 v[30:31], v[160:161], v[30:31], -v[66:67]
	ds_load_b128 v[0:3], v228
	ds_load_b128 v[4:7], v228 offset:5184
	ds_load_b128 v[8:11], v228 offset:10368
	s_waitcnt lgkmcnt(2)
	v_add_f64 v[64:65], v[0:1], v[36:37]
	v_add_f64 v[48:49], v[36:37], v[38:39]
	s_waitcnt lgkmcnt(1)
	v_add_f64 v[68:69], v[4:5], v[40:41]
	v_add_f64 v[82:83], v[36:37], -v[38:39]
	v_add_f64 v[50:51], v[40:41], v[12:13]
	v_add_f64 v[52:53], v[42:43], v[14:15]
	v_add_f64 v[70:71], v[42:43], -v[14:15]
	v_add_f64 v[42:43], v[6:7], v[42:43]
	v_add_f64 v[54:55], v[16:17], v[20:21]
	;; [unrolled: 1-line block ×3, first 2 shown]
	s_waitcnt lgkmcnt(0)
	v_add_f64 v[72:73], v[8:9], v[16:17]
	v_add_f64 v[58:59], v[44:45], v[46:47]
	;; [unrolled: 1-line block ×3, first 2 shown]
	v_add_f64 v[40:41], v[40:41], -v[12:13]
	v_add_f64 v[60:61], v[24:25], v[28:29]
	v_add_f64 v[62:63], v[26:27], v[30:31]
	v_add_f64 v[18:19], v[18:19], -v[22:23]
	v_add_f64 v[80:81], v[16:17], -v[20:21]
	v_add_f64 v[76:77], v[32:33], v[24:25]
	v_add_f64 v[78:79], v[34:35], v[26:27]
	v_add_f64 v[66:67], v[44:45], -v[46:47]
	v_add_f64 v[84:85], v[26:27], -v[30:31]
	;; [unrolled: 1-line block ×3, first 2 shown]
	v_add_f64 v[44:45], v[2:3], v[44:45]
	v_fma_f64 v[48:49], v[48:49], -0.5, v[0:1]
	v_add_f64 v[0:1], v[64:65], v[38:39]
	v_fma_f64 v[50:51], v[50:51], -0.5, v[4:5]
	v_fma_f64 v[52:53], v[52:53], -0.5, v[6:7]
	v_add_f64 v[4:5], v[68:69], v[12:13]
	v_add_f64 v[6:7], v[42:43], v[14:15]
	v_fma_f64 v[54:55], v[54:55], -0.5, v[8:9]
	v_fma_f64 v[56:57], v[56:57], -0.5, v[10:11]
	v_add_f64 v[8:9], v[72:73], v[20:21]
	v_fma_f64 v[58:59], v[58:59], -0.5, v[2:3]
	v_add_f64 v[10:11], v[74:75], v[22:23]
	v_fma_f64 v[60:61], v[60:61], -0.5, v[32:33]
	v_fma_f64 v[62:63], v[62:63], -0.5, v[34:35]
	v_add_f64 v[12:13], v[76:77], v[28:29]
	v_add_f64 v[14:15], v[78:79], v[30:31]
	;; [unrolled: 1-line block ×3, first 2 shown]
	v_fma_f64 v[16:17], v[66:67], s[0:1], v[48:49]
	v_fma_f64 v[20:21], v[66:67], s[2:3], v[48:49]
	;; [unrolled: 1-line block ×16, first 2 shown]
	ds_store_b128 v228, v[4:7] offset:5184
	ds_store_b128 v228, v[8:11] offset:10368
	ds_store_b128 v228, v[24:27] offset:25920
	ds_store_b128 v228, v[32:35] offset:31104
	ds_store_b128 v228, v[28:31] offset:46656
	ds_store_b128 v228, v[36:39] offset:51840
	ds_store_b128 v228, v[16:19] offset:20736
	ds_store_b128 v228, v[12:15] offset:15552
	ds_store_b128 v228, v[20:23] offset:41472
	ds_store_b128 v228, v[40:43] offset:36288
	ds_store_b128 v228, v[0:3]
	ds_store_b128 v228, v[44:47] offset:57024
	s_waitcnt lgkmcnt(0)
	s_barrier
	buffer_gl0_inv
	s_and_b32 exec_lo, exec_lo, vcc_lo
	s_cbranch_execz .LBB0_15
; %bb.14:
	v_add_co_u32 v0, s0, s14, v224
	s_delay_alu instid0(VALU_DEP_1) | instskip(SKIP_1) | instid1(VALU_DEP_3)
	v_add_co_ci_u32_e64 v1, null, s15, 0, s0
	v_mad_u64_u32 v[94:95], null, s6, v225, 0
	v_add_co_u32 v10, vcc_lo, 0x1000, v0
	s_delay_alu instid0(VALU_DEP_3)
	v_add_co_ci_u32_e32 v11, vcc_lo, 0, v1, vcc_lo
	v_add_co_u32 v14, vcc_lo, 0x2000, v0
	v_add_co_ci_u32_e32 v15, vcc_lo, 0, v1, vcc_lo
	v_add_co_u32 v18, vcc_lo, 0x3000, v0
	;; [unrolled: 2-line block ×7, first 2 shown]
	v_add_co_ci_u32_e32 v39, vcc_lo, 0, v1, vcc_lo
	s_clause 0x3
	global_load_b128 v[2:5], v224, s[14:15]
	global_load_b128 v[6:9], v224, s[14:15] offset:3888
	global_load_b128 v[10:13], v[10:11], off offset:3680
	global_load_b128 v[14:17], v[14:15], off offset:3472
	v_add_co_u32 v42, vcc_lo, 0x9000, v0
	v_add_co_ci_u32_e32 v43, vcc_lo, 0, v1, vcc_lo
	v_add_co_u32 v46, vcc_lo, 0xa000, v0
	s_clause 0x4
	global_load_b128 v[18:21], v[18:19], off offset:3264
	global_load_b128 v[22:25], v[22:23], off offset:3056
	;; [unrolled: 1-line block ×5, first 2 shown]
	v_add_co_ci_u32_e32 v47, vcc_lo, 0, v1, vcc_lo
	s_clause 0x2
	global_load_b128 v[38:41], v[38:39], off offset:2224
	global_load_b128 v[42:45], v[42:43], off offset:2016
	;; [unrolled: 1-line block ×3, first 2 shown]
	v_mad_u64_u32 v[106:107], null, s4, v226, 0
	v_mov_b32_e32 v54, v95
	ds_load_b128 v[50:53], v228
	s_mul_i32 s0, s5, 0xf30
	s_mul_hi_u32 s3, s4, 0xf30
	s_mul_i32 s2, s4, 0xf30
	v_mad_u64_u32 v[78:79], null, s7, v225, v[54:55]
	v_mov_b32_e32 v70, v107
	ds_load_b128 v[54:57], v224 offset:3888
	ds_load_b128 v[58:61], v224 offset:7776
	;; [unrolled: 1-line block ×4, first 2 shown]
	s_add_i32 s3, s3, s0
	s_mov_b32 s0, 0xa88f4696
	s_mov_b32 s1, 0x3f30db20
	v_mad_u64_u32 v[96:97], null, s5, v226, v[70:71]
	v_mov_b32_e32 v95, v78
	ds_load_b128 v[70:73], v224 offset:23328
	ds_load_b128 v[74:77], v224 offset:27216
	;; [unrolled: 1-line block ×6, first 2 shown]
	v_lshlrev_b64 v[108:109], 4, v[94:95]
	v_mov_b32_e32 v107, v96
	ds_load_b128 v[94:97], v228 offset:46656
	ds_load_b128 v[98:101], v224 offset:42768
	;; [unrolled: 1-line block ×3, first 2 shown]
	v_lshlrev_b64 v[106:107], 4, v[106:107]
	v_add_co_u32 v108, vcc_lo, s12, v108
	v_add_co_ci_u32_e32 v109, vcc_lo, s13, v109, vcc_lo
	s_delay_alu instid0(VALU_DEP_2) | instskip(NEXT) | instid1(VALU_DEP_2)
	v_add_co_u32 v106, vcc_lo, v108, v106
	v_add_co_ci_u32_e32 v107, vcc_lo, v109, v107, vcc_lo
	s_delay_alu instid0(VALU_DEP_2) | instskip(NEXT) | instid1(VALU_DEP_2)
	;; [unrolled: 3-line block ×4, first 2 shown]
	v_add_co_u32 v136, vcc_lo, v134, s2
	v_add_co_ci_u32_e32 v137, vcc_lo, s3, v135, vcc_lo
	s_waitcnt vmcnt(11) lgkmcnt(13)
	v_mul_f64 v[108:109], v[52:53], v[4:5]
	v_mul_f64 v[4:5], v[50:51], v[4:5]
	s_waitcnt vmcnt(10) lgkmcnt(12)
	v_mul_f64 v[110:111], v[56:57], v[8:9]
	v_mul_f64 v[8:9], v[54:55], v[8:9]
	;; [unrolled: 3-line block ×5, first 2 shown]
	s_waitcnt vmcnt(6)
	v_mul_f64 v[118:119], v[68:69], v[24:25]
	v_mul_f64 v[24:25], v[66:67], v[24:25]
	s_waitcnt vmcnt(5)
	v_mul_f64 v[120:121], v[72:73], v[28:29]
	v_mul_f64 v[28:29], v[70:71], v[28:29]
	;; [unrolled: 3-line block ×3, first 2 shown]
	s_waitcnt vmcnt(3) lgkmcnt(5)
	v_mul_f64 v[124:125], v[84:85], v[36:37]
	v_mul_f64 v[36:37], v[82:83], v[36:37]
	s_waitcnt vmcnt(2) lgkmcnt(4)
	v_mul_f64 v[126:127], v[88:89], v[40:41]
	v_mul_f64 v[40:41], v[86:87], v[40:41]
	s_waitcnt vmcnt(1) lgkmcnt(3)
	v_mul_f64 v[128:129], v[92:93], v[44:45]
	v_mul_f64 v[44:45], v[90:91], v[44:45]
	s_waitcnt vmcnt(0) lgkmcnt(1)
	v_mul_f64 v[130:131], v[100:101], v[48:49]
	v_mul_f64 v[48:49], v[98:99], v[48:49]
	v_fma_f64 v[50:51], v[50:51], v[2:3], v[108:109]
	v_fma_f64 v[4:5], v[2:3], v[52:53], -v[4:5]
	v_fma_f64 v[52:53], v[54:55], v[6:7], v[110:111]
	v_fma_f64 v[8:9], v[6:7], v[56:57], -v[8:9]
	;; [unrolled: 2-line block ×12, first 2 shown]
	v_add_co_u32 v74, vcc_lo, v136, s2
	v_add_co_ci_u32_e32 v75, vcc_lo, s3, v137, vcc_lo
	s_delay_alu instid0(VALU_DEP_2) | instskip(NEXT) | instid1(VALU_DEP_2)
	v_add_co_u32 v76, vcc_lo, v74, s2
	v_add_co_ci_u32_e32 v77, vcc_lo, s3, v75, vcc_lo
	s_delay_alu instid0(VALU_DEP_2) | instskip(NEXT) | instid1(VALU_DEP_2)
	v_add_co_u32 v78, vcc_lo, v76, s2
	v_add_co_ci_u32_e32 v79, vcc_lo, s3, v77, vcc_lo
	v_mul_f64 v[2:3], v[50:51], s[0:1]
	v_mul_f64 v[4:5], v[4:5], s[0:1]
	;; [unrolled: 1-line block ×24, first 2 shown]
	v_add_co_u32 v50, vcc_lo, v78, s2
	v_add_co_ci_u32_e32 v51, vcc_lo, s3, v79, vcc_lo
	s_delay_alu instid0(VALU_DEP_2) | instskip(NEXT) | instid1(VALU_DEP_2)
	v_add_co_u32 v52, vcc_lo, v50, s2
	v_add_co_ci_u32_e32 v53, vcc_lo, s3, v51, vcc_lo
	s_delay_alu instid0(VALU_DEP_2) | instskip(NEXT) | instid1(VALU_DEP_2)
	;; [unrolled: 3-line block ×3, first 2 shown]
	v_add_co_u32 v56, vcc_lo, v54, s2
	v_add_co_ci_u32_e32 v57, vcc_lo, s3, v55, vcc_lo
	v_add_co_u32 v58, vcc_lo, 0xb000, v0
	v_add_co_ci_u32_e32 v59, vcc_lo, 0, v1, vcc_lo
	s_delay_alu instid0(VALU_DEP_4) | instskip(NEXT) | instid1(VALU_DEP_4)
	v_add_co_u32 v60, vcc_lo, v56, s2
	v_add_co_ci_u32_e32 v61, vcc_lo, s3, v57, vcc_lo
	s_clause 0x4
	global_store_b128 v[106:107], v[2:5], off
	global_store_b128 v[132:133], v[6:9], off
	;; [unrolled: 1-line block ×12, first 2 shown]
	global_load_b128 v[2:5], v[58:59], off offset:1600
	s_waitcnt vmcnt(0)
	v_mul_f64 v[6:7], v[96:97], v[4:5]
	v_mul_f64 v[4:5], v[94:95], v[4:5]
	s_delay_alu instid0(VALU_DEP_2) | instskip(NEXT) | instid1(VALU_DEP_2)
	v_fma_f64 v[6:7], v[94:95], v[2:3], v[6:7]
	v_fma_f64 v[4:5], v[2:3], v[96:97], -v[4:5]
	s_delay_alu instid0(VALU_DEP_2) | instskip(NEXT) | instid1(VALU_DEP_2)
	v_mul_f64 v[2:3], v[6:7], s[0:1]
	v_mul_f64 v[4:5], v[4:5], s[0:1]
	v_add_co_u32 v6, vcc_lo, v60, s2
	v_add_co_ci_u32_e32 v7, vcc_lo, s3, v61, vcc_lo
	v_add_co_u32 v8, vcc_lo, 0xc000, v0
	v_add_co_ci_u32_e32 v9, vcc_lo, 0, v1, vcc_lo
	s_delay_alu instid0(VALU_DEP_4) | instskip(NEXT) | instid1(VALU_DEP_4)
	v_add_co_u32 v14, vcc_lo, v6, s2
	v_add_co_ci_u32_e32 v15, vcc_lo, s3, v7, vcc_lo
	global_store_b128 v[6:7], v[2:5], off
	global_load_b128 v[2:5], v[8:9], off offset:1392
	v_add_co_u32 v6, vcc_lo, 0xd000, v0
	v_add_co_ci_u32_e32 v7, vcc_lo, 0, v1, vcc_lo
	s_waitcnt vmcnt(0) lgkmcnt(0)
	v_mul_f64 v[8:9], v[104:105], v[4:5]
	v_mul_f64 v[4:5], v[102:103], v[4:5]
	s_delay_alu instid0(VALU_DEP_2) | instskip(NEXT) | instid1(VALU_DEP_2)
	v_fma_f64 v[8:9], v[102:103], v[2:3], v[8:9]
	v_fma_f64 v[4:5], v[2:3], v[104:105], -v[4:5]
	s_delay_alu instid0(VALU_DEP_2) | instskip(NEXT) | instid1(VALU_DEP_2)
	v_mul_f64 v[2:3], v[8:9], s[0:1]
	v_mul_f64 v[4:5], v[4:5], s[0:1]
	global_store_b128 v[14:15], v[2:5], off
	global_load_b128 v[2:5], v[6:7], off offset:1184
	ds_load_b128 v[6:9], v224 offset:54432
	ds_load_b128 v[10:13], v224 offset:58320
	s_waitcnt vmcnt(0) lgkmcnt(1)
	v_mul_f64 v[16:17], v[8:9], v[4:5]
	v_mul_f64 v[4:5], v[6:7], v[4:5]
	s_delay_alu instid0(VALU_DEP_2) | instskip(NEXT) | instid1(VALU_DEP_2)
	v_fma_f64 v[6:7], v[6:7], v[2:3], v[16:17]
	v_fma_f64 v[4:5], v[2:3], v[8:9], -v[4:5]
	s_delay_alu instid0(VALU_DEP_2) | instskip(NEXT) | instid1(VALU_DEP_2)
	v_mul_f64 v[2:3], v[6:7], s[0:1]
	v_mul_f64 v[4:5], v[4:5], s[0:1]
	v_add_co_u32 v6, vcc_lo, v14, s2
	v_add_co_ci_u32_e32 v7, vcc_lo, s3, v15, vcc_lo
	v_add_co_u32 v0, vcc_lo, 0xe000, v0
	v_add_co_ci_u32_e32 v1, vcc_lo, 0, v1, vcc_lo
	global_store_b128 v[6:7], v[2:5], off
	global_load_b128 v[0:3], v[0:1], off offset:976
	s_waitcnt vmcnt(0) lgkmcnt(0)
	v_mul_f64 v[4:5], v[12:13], v[2:3]
	v_mul_f64 v[2:3], v[10:11], v[2:3]
	s_delay_alu instid0(VALU_DEP_2) | instskip(NEXT) | instid1(VALU_DEP_2)
	v_fma_f64 v[4:5], v[10:11], v[0:1], v[4:5]
	v_fma_f64 v[2:3], v[0:1], v[12:13], -v[2:3]
	s_delay_alu instid0(VALU_DEP_2) | instskip(NEXT) | instid1(VALU_DEP_2)
	v_mul_f64 v[0:1], v[4:5], s[0:1]
	v_mul_f64 v[2:3], v[2:3], s[0:1]
	v_add_co_u32 v4, vcc_lo, v6, s2
	v_add_co_ci_u32_e32 v5, vcc_lo, s3, v7, vcc_lo
	global_store_b128 v[4:5], v[0:3], off
.LBB0_15:
	s_nop 0
	s_sendmsg sendmsg(MSG_DEALLOC_VGPRS)
	s_endpgm
	.section	.rodata,"a",@progbits
	.p2align	6, 0x0
	.amdhsa_kernel bluestein_single_fwd_len3888_dim1_dp_op_CI_CI
		.amdhsa_group_segment_fixed_size 62208
		.amdhsa_private_segment_fixed_size 132
		.amdhsa_kernarg_size 104
		.amdhsa_user_sgpr_count 15
		.amdhsa_user_sgpr_dispatch_ptr 0
		.amdhsa_user_sgpr_queue_ptr 0
		.amdhsa_user_sgpr_kernarg_segment_ptr 1
		.amdhsa_user_sgpr_dispatch_id 0
		.amdhsa_user_sgpr_private_segment_size 0
		.amdhsa_wavefront_size32 1
		.amdhsa_uses_dynamic_stack 0
		.amdhsa_enable_private_segment 1
		.amdhsa_system_sgpr_workgroup_id_x 1
		.amdhsa_system_sgpr_workgroup_id_y 0
		.amdhsa_system_sgpr_workgroup_id_z 0
		.amdhsa_system_sgpr_workgroup_info 0
		.amdhsa_system_vgpr_workitem_id 0
		.amdhsa_next_free_vgpr 256
		.amdhsa_next_free_sgpr 21
		.amdhsa_reserve_vcc 1
		.amdhsa_float_round_mode_32 0
		.amdhsa_float_round_mode_16_64 0
		.amdhsa_float_denorm_mode_32 3
		.amdhsa_float_denorm_mode_16_64 3
		.amdhsa_dx10_clamp 1
		.amdhsa_ieee_mode 1
		.amdhsa_fp16_overflow 0
		.amdhsa_workgroup_processor_mode 1
		.amdhsa_memory_ordered 1
		.amdhsa_forward_progress 0
		.amdhsa_shared_vgpr_count 0
		.amdhsa_exception_fp_ieee_invalid_op 0
		.amdhsa_exception_fp_denorm_src 0
		.amdhsa_exception_fp_ieee_div_zero 0
		.amdhsa_exception_fp_ieee_overflow 0
		.amdhsa_exception_fp_ieee_underflow 0
		.amdhsa_exception_fp_ieee_inexact 0
		.amdhsa_exception_int_div_zero 0
	.end_amdhsa_kernel
	.text
.Lfunc_end0:
	.size	bluestein_single_fwd_len3888_dim1_dp_op_CI_CI, .Lfunc_end0-bluestein_single_fwd_len3888_dim1_dp_op_CI_CI
                                        ; -- End function
	.section	.AMDGPU.csdata,"",@progbits
; Kernel info:
; codeLenInByte = 21048
; NumSgprs: 23
; NumVgprs: 256
; ScratchSize: 132
; MemoryBound: 0
; FloatMode: 240
; IeeeMode: 1
; LDSByteSize: 62208 bytes/workgroup (compile time only)
; SGPRBlocks: 2
; VGPRBlocks: 31
; NumSGPRsForWavesPerEU: 23
; NumVGPRsForWavesPerEU: 256
; Occupancy: 5
; WaveLimiterHint : 1
; COMPUTE_PGM_RSRC2:SCRATCH_EN: 1
; COMPUTE_PGM_RSRC2:USER_SGPR: 15
; COMPUTE_PGM_RSRC2:TRAP_HANDLER: 0
; COMPUTE_PGM_RSRC2:TGID_X_EN: 1
; COMPUTE_PGM_RSRC2:TGID_Y_EN: 0
; COMPUTE_PGM_RSRC2:TGID_Z_EN: 0
; COMPUTE_PGM_RSRC2:TIDIG_COMP_CNT: 0
	.text
	.p2alignl 7, 3214868480
	.fill 96, 4, 3214868480
	.type	__hip_cuid_8573e31ff61256ec,@object ; @__hip_cuid_8573e31ff61256ec
	.section	.bss,"aw",@nobits
	.globl	__hip_cuid_8573e31ff61256ec
__hip_cuid_8573e31ff61256ec:
	.byte	0                               ; 0x0
	.size	__hip_cuid_8573e31ff61256ec, 1

	.ident	"AMD clang version 19.0.0git (https://github.com/RadeonOpenCompute/llvm-project roc-6.4.0 25133 c7fe45cf4b819c5991fe208aaa96edf142730f1d)"
	.section	".note.GNU-stack","",@progbits
	.addrsig
	.addrsig_sym __hip_cuid_8573e31ff61256ec
	.amdgpu_metadata
---
amdhsa.kernels:
  - .args:
      - .actual_access:  read_only
        .address_space:  global
        .offset:         0
        .size:           8
        .value_kind:     global_buffer
      - .actual_access:  read_only
        .address_space:  global
        .offset:         8
        .size:           8
        .value_kind:     global_buffer
      - .actual_access:  read_only
        .address_space:  global
        .offset:         16
        .size:           8
        .value_kind:     global_buffer
      - .actual_access:  read_only
        .address_space:  global
        .offset:         24
        .size:           8
        .value_kind:     global_buffer
      - .actual_access:  read_only
        .address_space:  global
        .offset:         32
        .size:           8
        .value_kind:     global_buffer
      - .offset:         40
        .size:           8
        .value_kind:     by_value
      - .address_space:  global
        .offset:         48
        .size:           8
        .value_kind:     global_buffer
      - .address_space:  global
        .offset:         56
        .size:           8
        .value_kind:     global_buffer
      - .address_space:  global
        .offset:         64
        .size:           8
        .value_kind:     global_buffer
      - .address_space:  global
        .offset:         72
        .size:           8
        .value_kind:     global_buffer
      - .offset:         80
        .size:           4
        .value_kind:     by_value
      - .address_space:  global
        .offset:         88
        .size:           8
        .value_kind:     global_buffer
      - .address_space:  global
        .offset:         96
        .size:           8
        .value_kind:     global_buffer
    .group_segment_fixed_size: 62208
    .kernarg_segment_align: 8
    .kernarg_segment_size: 104
    .language:       OpenCL C
    .language_version:
      - 2
      - 0
    .max_flat_workgroup_size: 324
    .name:           bluestein_single_fwd_len3888_dim1_dp_op_CI_CI
    .private_segment_fixed_size: 132
    .sgpr_count:     23
    .sgpr_spill_count: 0
    .symbol:         bluestein_single_fwd_len3888_dim1_dp_op_CI_CI.kd
    .uniform_work_group_size: 1
    .uses_dynamic_stack: false
    .vgpr_count:     256
    .vgpr_spill_count: 34
    .wavefront_size: 32
    .workgroup_processor_mode: 1
amdhsa.target:   amdgcn-amd-amdhsa--gfx1100
amdhsa.version:
  - 1
  - 2
...

	.end_amdgpu_metadata
